;; amdgpu-corpus repo=ROCm/rocFFT kind=compiled arch=gfx1030 opt=O3
	.text
	.amdgcn_target "amdgcn-amd-amdhsa--gfx1030"
	.amdhsa_code_object_version 6
	.protected	bluestein_single_fwd_len780_dim1_half_op_CI_CI ; -- Begin function bluestein_single_fwd_len780_dim1_half_op_CI_CI
	.globl	bluestein_single_fwd_len780_dim1_half_op_CI_CI
	.p2align	8
	.type	bluestein_single_fwd_len780_dim1_half_op_CI_CI,@function
bluestein_single_fwd_len780_dim1_half_op_CI_CI: ; @bluestein_single_fwd_len780_dim1_half_op_CI_CI
; %bb.0:
	s_load_dwordx4 s[8:11], s[4:5], 0x28
	v_mul_u32_u24_e32 v1, 0x349, v0
	v_lshrrev_b32_e32 v1, 16, v1
	v_mad_u64_u32 v[16:17], null, s6, 3, v[1:2]
	v_mov_b32_e32 v17, 0
                                        ; kill: def $vgpr2 killed $sgpr0 killed $exec
	s_mov_b32 s0, exec_lo
	s_waitcnt lgkmcnt(0)
	v_cmpx_gt_u64_e64 s[8:9], v[16:17]
	s_cbranch_execz .LBB0_18
; %bb.1:
	s_clause 0x1
	s_load_dwordx4 s[0:3], s[4:5], 0x18
	s_load_dwordx4 s[12:15], s[4:5], 0x0
	v_mul_lo_u16 v1, 0x4e, v1
	v_sub_nc_u16 v21, v0, v1
	v_and_b32_e32 v38, 0xffff, v21
	v_lshlrev_b16 v14, 1, v21
	v_lshlrev_b32_e32 v27, 2, v38
	s_waitcnt lgkmcnt(0)
	s_load_dwordx4 s[16:19], s[0:1], 0x0
	s_clause 0x1
	global_load_dword v39, v27, s[12:13] offset:1560
	global_load_dword v35, v27, s[12:13] offset:1872
	v_add_co_u32 v7, s0, s12, v27
	v_add_co_ci_u32_e64 v8, null, s13, 0, s0
	s_waitcnt lgkmcnt(0)
	v_mad_u64_u32 v[0:1], null, s18, v16, 0
	v_mad_u64_u32 v[2:3], null, s16, v38, 0
	s_mul_i32 s0, s17, 0x618
	s_mul_hi_u32 s1, s16, 0x618
	s_mul_i32 s6, s16, 0x618
	s_add_i32 s1, s1, s0
	s_mul_hi_u32 s8, s16, 0xfffffb20
	s_mul_i32 s7, s17, 0xfffffb20
	v_mad_u64_u32 v[4:5], null, s19, v16, v[1:2]
	s_mul_i32 s9, s16, 0xfffffb20
	s_sub_i32 s0, s8, s16
	s_add_i32 s0, s0, s7
	v_mad_u64_u32 v[5:6], null, s17, v38, v[3:4]
	v_mov_b32_e32 v1, v4
	v_lshlrev_b64 v[0:1], 2, v[0:1]
	v_mov_b32_e32 v3, v5
	v_add_co_u32 v0, vcc_lo, s10, v0
	v_lshlrev_b64 v[2:3], 2, v[2:3]
	v_add_co_ci_u32_e32 v1, vcc_lo, s11, v1, vcc_lo
	v_add_co_u32 v0, vcc_lo, v0, v2
	v_add_co_ci_u32_e32 v1, vcc_lo, v1, v3, vcc_lo
	v_add_co_u32 v2, vcc_lo, v0, s6
	v_add_co_ci_u32_e32 v3, vcc_lo, s1, v1, vcc_lo
	global_load_dword v6, v[0:1], off
	v_add_co_u32 v0, vcc_lo, v2, s9
	v_add_co_ci_u32_e32 v1, vcc_lo, s0, v3, vcc_lo
	s_clause 0x3
	global_load_dword v40, v27, s[12:13]
	global_load_dword v37, v27, s[12:13] offset:312
	global_load_dword v34, v27, s[12:13] offset:624
	;; [unrolled: 1-line block ×3, first 2 shown]
	s_clause 0x1
	global_load_dword v9, v[2:3], off
	global_load_dword v10, v[0:1], off
	v_add_co_u32 v0, vcc_lo, v0, s6
	v_add_co_ci_u32_e32 v1, vcc_lo, s1, v1, vcc_lo
	v_add_co_u32 v2, vcc_lo, 0x800, v7
	v_add_co_ci_u32_e32 v3, vcc_lo, 0, v8, vcc_lo
	global_load_dword v7, v[0:1], off
	v_add_co_u32 v0, vcc_lo, v0, s9
	v_add_co_ci_u32_e32 v1, vcc_lo, s0, v1, vcc_lo
	global_load_dword v33, v[2:3], off offset:136
	v_add_co_u32 v4, vcc_lo, v0, s6
	v_add_co_ci_u32_e32 v5, vcc_lo, s1, v1, vcc_lo
	global_load_dword v8, v[0:1], off
	v_add_co_u32 v0, vcc_lo, v4, s9
	v_add_co_ci_u32_e32 v1, vcc_lo, s0, v5, vcc_lo
	global_load_dword v11, v[4:5], off
	;; [unrolled: 3-line block ×4, first 2 shown]
	v_add_co_u32 v4, vcc_lo, v0, s6
	v_add_co_ci_u32_e32 v5, vcc_lo, s1, v1, vcc_lo
	global_load_dword v31, v[2:3], off offset:448
	global_load_dword v0, v[0:1], off
	global_load_dword v1, v[4:5], off
	s_clause 0x1
	global_load_dword v30, v27, s[12:13] offset:1248
	global_load_dword v29, v[2:3], off offset:760
	v_mul_hi_u32 v2, 0xaaaaaaab, v16
	s_load_dwordx4 s[8:11], s[2:3], 0x0
	s_load_dwordx2 s[2:3], s[4:5], 0x38
	v_cmp_gt_u16_e32 vcc_lo, 26, v21
	v_lshrrev_b32_e32 v2, 1, v2
	v_lshl_add_u32 v2, v2, 1, v2
	v_sub_nc_u32_e32 v2, v16, v2
	v_mul_u32_u24_e32 v52, 0x30c, v2
	v_lshlrev_b32_e32 v41, 2, v52
	v_add_nc_u32_e32 v36, v27, v41
	v_lshl_add_u32 v54, v38, 3, v41
	v_add_nc_u32_e32 v23, 0x400, v36
	v_add_nc_u32_e32 v15, 0x600, v36
	;; [unrolled: 1-line block ×3, first 2 shown]
	s_waitcnt vmcnt(17)
	v_lshrrev_b32_e32 v2, 16, v6
	s_waitcnt vmcnt(16)
	v_mul_f16_sdwa v3, v40, v6 dst_sel:DWORD dst_unused:UNUSED_PAD src0_sel:WORD_1 src1_sel:DWORD
	s_waitcnt vmcnt(12)
	v_lshrrev_b32_e32 v5, 16, v9
	v_mul_f16_sdwa v4, v40, v2 dst_sel:DWORD dst_unused:UNUSED_PAD src0_sel:WORD_1 src1_sel:DWORD
	v_mul_f16_sdwa v17, v39, v9 dst_sel:DWORD dst_unused:UNUSED_PAD src0_sel:WORD_1 src1_sel:DWORD
	v_fma_f16 v2, v40, v2, -v3
	v_mul_f16_sdwa v3, v39, v5 dst_sel:DWORD dst_unused:UNUSED_PAD src0_sel:WORD_1 src1_sel:DWORD
	v_fmac_f16_e32 v4, v40, v6
	s_waitcnt vmcnt(11)
	v_lshrrev_b32_e32 v6, 16, v10
	v_fma_f16 v5, v39, v5, -v17
	v_mul_f16_sdwa v17, v37, v10 dst_sel:DWORD dst_unused:UNUSED_PAD src0_sel:WORD_1 src1_sel:DWORD
	v_fmac_f16_e32 v3, v39, v9
	v_pack_b32_f16 v2, v4, v2
	v_mul_f16_sdwa v4, v37, v6 dst_sel:DWORD dst_unused:UNUSED_PAD src0_sel:WORD_1 src1_sel:DWORD
	s_waitcnt vmcnt(10)
	v_lshrrev_b32_e32 v9, 16, v7
	v_fma_f16 v6, v37, v6, -v17
	v_pack_b32_f16 v3, v3, v5
	v_mul_f16_sdwa v18, v35, v7 dst_sel:DWORD dst_unused:UNUSED_PAD src0_sel:WORD_1 src1_sel:DWORD
	v_fmac_f16_e32 v4, v37, v10
	v_mul_f16_sdwa v5, v35, v9 dst_sel:DWORD dst_unused:UNUSED_PAD src0_sel:WORD_1 src1_sel:DWORD
	s_waitcnt vmcnt(8)
	v_lshrrev_b32_e32 v10, 16, v8
	v_mul_f16_sdwa v17, v34, v8 dst_sel:DWORD dst_unused:UNUSED_PAD src0_sel:WORD_1 src1_sel:DWORD
	ds_write_b32 v36, v3 offset:1560
	v_pack_b32_f16 v3, v4, v6
	v_fma_f16 v9, v35, v9, -v18
	v_mul_f16_sdwa v4, v34, v10 dst_sel:DWORD dst_unused:UNUSED_PAD src0_sel:WORD_1 src1_sel:DWORD
	v_fmac_f16_e32 v5, v35, v7
	v_fma_f16 v6, v34, v10, -v17
	s_waitcnt vmcnt(7)
	v_lshrrev_b32_e32 v7, 16, v11
	v_mul_f16_sdwa v10, v33, v11 dst_sel:DWORD dst_unused:UNUSED_PAD src0_sel:WORD_1 src1_sel:DWORD
	v_fmac_f16_e32 v4, v34, v8
	s_waitcnt vmcnt(6)
	v_lshrrev_b32_e32 v8, 16, v12
	v_pack_b32_f16 v5, v5, v9
	v_mul_f16_sdwa v9, v33, v7 dst_sel:DWORD dst_unused:UNUSED_PAD src0_sel:WORD_1 src1_sel:DWORD
	v_fma_f16 v7, v33, v7, -v10
	v_mul_f16_sdwa v10, v32, v12 dst_sel:DWORD dst_unused:UNUSED_PAD src0_sel:WORD_1 src1_sel:DWORD
	v_pack_b32_f16 v4, v4, v6
	v_mul_f16_sdwa v6, v32, v8 dst_sel:DWORD dst_unused:UNUSED_PAD src0_sel:WORD_1 src1_sel:DWORD
	v_fmac_f16_e32 v9, v33, v11
	s_waitcnt vmcnt(5)
	v_lshrrev_b32_e32 v11, 16, v13
	v_fma_f16 v8, v32, v8, -v10
	s_waitcnt vmcnt(4)
	v_mul_f16_sdwa v10, v31, v13 dst_sel:DWORD dst_unused:UNUSED_PAD src0_sel:WORD_1 src1_sel:DWORD
	v_fmac_f16_e32 v6, v32, v12
	s_waitcnt vmcnt(3)
	v_lshrrev_b32_e32 v12, 16, v0
	s_waitcnt vmcnt(2)
	v_lshrrev_b32_e32 v18, 16, v1
	v_mul_f16_sdwa v17, v31, v11 dst_sel:DWORD dst_unused:UNUSED_PAD src0_sel:WORD_1 src1_sel:DWORD
	v_fma_f16 v10, v31, v11, -v10
	s_waitcnt vmcnt(1)
	v_mul_f16_sdwa v11, v30, v0 dst_sel:DWORD dst_unused:UNUSED_PAD src0_sel:WORD_1 src1_sel:DWORD
	v_mul_f16_sdwa v19, v30, v12 dst_sel:DWORD dst_unused:UNUSED_PAD src0_sel:WORD_1 src1_sel:DWORD
	s_waitcnt vmcnt(0)
	v_mul_f16_sdwa v20, v29, v1 dst_sel:DWORD dst_unused:UNUSED_PAD src0_sel:WORD_1 src1_sel:DWORD
	v_mul_f16_sdwa v24, v29, v18 dst_sel:DWORD dst_unused:UNUSED_PAD src0_sel:WORD_1 src1_sel:DWORD
	v_fmac_f16_e32 v17, v31, v13
	v_fma_f16 v11, v30, v12, -v11
	v_fmac_f16_e32 v19, v30, v0
	v_fma_f16 v0, v29, v18, -v20
	v_fmac_f16_e32 v24, v29, v1
	v_pack_b32_f16 v1, v9, v7
	v_pack_b32_f16 v6, v6, v8
	;; [unrolled: 1-line block ×5, first 2 shown]
	ds_write2_b32 v36, v2, v3 offset1:78
	ds_write2_b32 v15, v5, v1 offset0:84 offset1:162
	ds_write2_b32 v36, v4, v6 offset0:156 offset1:234
	ds_write_b32 v36, v8 offset:1248
	ds_write2_b32 v22, v7, v0 offset0:112 offset1:190
	s_waitcnt lgkmcnt(0)
	s_barrier
	buffer_gl0_inv
	ds_read2_b32 v[0:1], v23 offset0:56 offset1:134
	ds_read2_b32 v[2:3], v22 offset0:112 offset1:190
	ds_read2_b32 v[4:5], v36 offset1:78
	ds_read2_b32 v[9:10], v15 offset0:84 offset1:162
	ds_read2_b32 v[11:12], v36 offset0:156 offset1:234
	v_and_b32_e32 v13, 0xffff, v14
	v_add_co_u32 v8, null, 0x4e, v38
	v_add_co_u32 v7, null, 0x9c, v38
	;; [unrolled: 1-line block ×3, first 2 shown]
	v_lshl_add_u32 v28, v13, 2, v41
	v_lshl_add_u32 v45, v8, 3, v41
	v_add_nc_u32_e32 v24, 0x200, v36
	v_lshl_add_u32 v46, v7, 3, v41
	v_lshl_add_u32 v47, v6, 3, v41
	s_waitcnt lgkmcnt(0)
	s_barrier
	buffer_gl0_inv
	v_pk_add_f16 v14, v4, v1 neg_lo:[0,1] neg_hi:[0,1]
	v_pk_add_f16 v18, v5, v9 neg_lo:[0,1] neg_hi:[0,1]
	;; [unrolled: 1-line block ×5, first 2 shown]
	v_pk_fma_f16 v13, v4, 2.0, v14 op_sel_hi:[1,0,1] neg_lo:[0,0,1] neg_hi:[0,0,1]
	v_pk_fma_f16 v17, v5, 2.0, v18 op_sel_hi:[1,0,1] neg_lo:[0,0,1] neg_hi:[0,0,1]
	;; [unrolled: 1-line block ×5, first 2 shown]
	ds_write_b64 v28, v[13:14]
	ds_write_b64 v45, v[17:18]
	;; [unrolled: 1-line block ×4, first 2 shown]
	ds_write_b64 v54, v[0:1] offset:2496
	s_waitcnt lgkmcnt(0)
	s_barrier
	buffer_gl0_inv
	ds_read2_b32 v[14:15], v36 offset1:78
	ds_read2_b32 v[19:20], v24 offset0:28 offset1:132
	ds_read2_b32 v[2:3], v22 offset0:8 offset1:86
	;; [unrolled: 1-line block ×3, first 2 shown]
	ds_read_b32 v0, v36 offset:2704
                                        ; implicit-def: $vgpr9
                                        ; implicit-def: $vgpr11
                                        ; implicit-def: $vgpr10
                                        ; implicit-def: $vgpr12
	s_and_saveexec_b32 s0, vcc_lo
	s_cbranch_execz .LBB0_3
; %bb.2:
	ds_read_b32 v9, v36 offset:1976
	ds_read_b32 v10, v36 offset:3016
	;; [unrolled: 1-line block ×3, first 2 shown]
	s_waitcnt lgkmcnt(2)
	v_lshrrev_b32_e32 v11, 16, v9
	s_waitcnt lgkmcnt(1)
	v_lshrrev_b32_e32 v12, 16, v10
.LBB0_3:
	s_or_b32 exec_lo, exec_lo, s0
	v_and_b32_e32 v44, 1, v38
	v_lshrrev_b32_e32 v25, 1, v38
	v_lshrrev_b32_e32 v8, 1, v8
	;; [unrolled: 1-line block ×3, first 2 shown]
	s_waitcnt lgkmcnt(2)
	v_lshrrev_b32_e32 v21, 16, v2
	v_lshlrev_b32_e32 v13, 3, v44
	v_mul_u32_u24_e32 v25, 6, v25
	v_mul_u32_u24_e32 v8, 6, v8
	;; [unrolled: 1-line block ×3, first 2 shown]
	v_lshrrev_b32_e32 v48, 1, v6
	global_load_dwordx2 v[17:18], v13, s[14:15]
	v_lshrrev_b32_e32 v13, 16, v20
	v_or_b32_e32 v6, v25, v44
	v_or_b32_e32 v8, v8, v44
	;; [unrolled: 1-line block ×3, first 2 shown]
	s_waitcnt lgkmcnt(1)
	v_lshrrev_b32_e32 v22, 16, v4
	v_lshrrev_b32_e32 v23, 16, v3
	v_lshrrev_b32_e32 v24, 16, v5
	s_waitcnt lgkmcnt(0)
	v_lshrrev_b32_e32 v26, 16, v0
	v_lshl_add_u32 v51, v6, 2, v41
	v_lshl_add_u32 v50, v8, 2, v41
	;; [unrolled: 1-line block ×3, first 2 shown]
	v_lshrrev_b32_e32 v60, 16, v14
	v_lshrrev_b32_e32 v59, 16, v15
	;; [unrolled: 1-line block ×4, first 2 shown]
	s_waitcnt vmcnt(0)
	s_barrier
	buffer_gl0_inv
	v_mul_f16_sdwa v6, v13, v17 dst_sel:DWORD dst_unused:UNUSED_PAD src0_sel:DWORD src1_sel:WORD_1
	v_mul_f16_sdwa v7, v20, v17 dst_sel:DWORD dst_unused:UNUSED_PAD src0_sel:DWORD src1_sel:WORD_1
	;; [unrolled: 1-line block ×16, first 2 shown]
	v_fma_f16 v6, v20, v17, -v6
	v_fmac_f16_e32 v7, v13, v17
	v_fma_f16 v2, v2, v18, -v8
	v_fmac_f16_e32 v25, v21, v18
	;; [unrolled: 2-line block ×8, first 2 shown]
	v_add_f16_e32 v11, v6, v2
	v_sub_f16_e32 v23, v7, v25
	v_add_f16_e32 v13, v60, v7
	v_add_f16_e32 v7, v7, v25
	v_add_f16_e32 v24, v4, v3
	v_sub_f16_e32 v26, v43, v55
	v_add_f16_e32 v42, v59, v43
	v_add_f16_e32 v43, v43, v55
	;; [unrolled: 4-line block ×3, first 2 shown]
	v_add_f16_e32 v10, v14, v6
	v_sub_f16_e32 v6, v6, v2
	v_add_f16_e32 v70, v8, v9
	v_sub_f16_e32 v71, v65, v67
	v_add_f16_e32 v72, v61, v65
	v_add_f16_e32 v65, v65, v67
	v_fma_f16 v21, -0.5, v11, v14
	v_fmac_f16_e32 v60, -0.5, v7
	v_add_f16_e32 v20, v15, v4
	v_sub_f16_e32 v4, v4, v3
	v_fmac_f16_e32 v15, -0.5, v24
	v_fmac_f16_e32 v59, -0.5, v43
	v_add_f16_e32 v56, v19, v5
	v_sub_f16_e32 v5, v5, v0
	v_fmac_f16_e32 v19, -0.5, v64
	v_fmac_f16_e32 v58, -0.5, v57
	v_add_f16_e32 v69, v1, v8
	v_sub_f16_e32 v8, v8, v9
	v_add_f16_e32 v12, v10, v2
	v_add_f16_e32 v53, v13, v25
	v_fma_f16 v24, -0.5, v70, v1
	v_fmac_f16_e32 v61, -0.5, v65
	v_fmamk_f16 v13, v23, 0x3aee, v21
	v_fmamk_f16 v73, v6, 0xbaee, v60
	v_fmac_f16_e32 v21, 0xbaee, v23
	v_fmac_f16_e32 v60, 0x3aee, v6
	v_add_f16_e32 v22, v20, v3
	v_add_f16_e32 v62, v42, v55
	v_fmamk_f16 v14, v26, 0x3aee, v15
	v_fmamk_f16 v80, v4, 0xbaee, v59
	v_fmac_f16_e32 v15, 0xbaee, v26
	v_fmac_f16_e32 v59, 0x3aee, v4
	v_add_f16_e32 v25, v56, v0
	v_add_f16_e32 v63, v68, v63
	v_fmamk_f16 v26, v66, 0x3aee, v19
	v_fmamk_f16 v81, v5, 0xbaee, v58
	v_add_f16_e32 v20, v69, v9
	v_add_f16_e32 v78, v72, v67
	v_fmac_f16_e32 v19, 0xbaee, v66
	v_fmac_f16_e32 v58, 0x3aee, v5
	v_fmamk_f16 v23, v71, 0x3aee, v24
	v_fmac_f16_e32 v24, 0xbaee, v71
	v_fmamk_f16 v79, v8, 0xbaee, v61
	v_fmac_f16_e32 v61, 0x3aee, v8
	v_pack_b32_f16 v0, v12, v53
	v_pack_b32_f16 v3, v13, v73
	;; [unrolled: 1-line block ×9, first 2 shown]
	ds_write2_b32 v51, v0, v3 offset1:2
	ds_write_b32 v51, v4 offset:16
	ds_write2_b32 v50, v1, v5 offset1:2
	ds_write_b32 v50, v6 offset:16
	;; [unrolled: 2-line block ×3, first 2 shown]
	s_and_saveexec_b32 s0, vcc_lo
	s_cbranch_execz .LBB0_5
; %bb.4:
	v_mul_u32_u24_e32 v0, 6, v48
	v_perm_b32 v1, v78, v20, 0x5040100
	v_perm_b32 v2, v79, v23, 0x5040100
	;; [unrolled: 1-line block ×3, first 2 shown]
	v_or_b32_e32 v0, v0, v44
	v_lshl_add_u32 v0, v0, 2, v41
	ds_write2_b32 v0, v1, v2 offset1:2
	ds_write_b32 v0, v3 offset:16
.LBB0_5:
	s_or_b32 exec_lo, exec_lo, s0
	v_cmp_gt_u16_e64 s0, 60, v38
	s_waitcnt lgkmcnt(0)
	s_barrier
	buffer_gl0_inv
                                        ; implicit-def: $vgpr82
                                        ; implicit-def: $vgpr83
	s_and_saveexec_b32 s1, s0
	s_cbranch_execz .LBB0_7
; %bb.6:
	v_add_nc_u32_e32 v0, 0x200, v36
	v_add_nc_u32_e32 v1, 0x400, v36
	;; [unrolled: 1-line block ×3, first 2 shown]
	ds_read2_b32 v[12:13], v36 offset1:60
	ds_read2_b32 v[21:22], v36 offset0:120 offset1:180
	ds_read2_b32 v[14:15], v0 offset0:112 offset1:172
	v_add_nc_u32_e32 v0, 0x800, v36
	ds_read2_b32 v[25:26], v1 offset0:104 offset1:164
	ds_read2_b32 v[19:20], v2 offset0:96 offset1:156
	;; [unrolled: 1-line block ×3, first 2 shown]
	ds_read_b32 v82, v36 offset:2880
	s_waitcnt lgkmcnt(6)
	v_lshrrev_b32_e32 v53, 16, v12
	v_lshrrev_b32_e32 v73, 16, v13
	s_waitcnt lgkmcnt(5)
	v_lshrrev_b32_e32 v60, 16, v21
	v_lshrrev_b32_e32 v62, 16, v22
	;; [unrolled: 3-line block ×6, first 2 shown]
	s_waitcnt lgkmcnt(0)
	v_lshrrev_b32_e32 v83, 16, v82
.LBB0_7:
	s_or_b32 exec_lo, exec_lo, s1
	v_and_b32_e32 v0, 0xff, v38
	v_mul_lo_u16 v0, 0xab, v0
	v_lshrrev_b16 v43, 10, v0
	v_mul_lo_u16 v0, v43, 6
	v_sub_nc_u16 v0, v38, v0
	v_and_b32_e32 v42, 0xff, v0
	v_mad_u64_u32 v[8:9], null, v42, 48, s[14:15]
	s_clause 0x2
	global_load_dwordx4 v[4:7], v[8:9], off offset:16
	global_load_dwordx4 v[0:3], v[8:9], off offset:32
	;; [unrolled: 1-line block ×3, first 2 shown]
	s_waitcnt vmcnt(0)
	s_barrier
	buffer_gl0_inv
	v_mul_f16_sdwa v74, v73, v4 dst_sel:DWORD dst_unused:UNUSED_PAD src0_sel:DWORD src1_sel:WORD_1
	v_mul_f16_sdwa v72, v13, v4 dst_sel:DWORD dst_unused:UNUSED_PAD src0_sel:DWORD src1_sel:WORD_1
	;; [unrolled: 1-line block ×10, first 2 shown]
	v_fma_f16 v77, v13, v4, -v74
	v_fmac_f16_e32 v72, v73, v4
	v_fma_f16 v13, v82, v11, -v93
	v_fmac_f16_e32 v57, v83, v11
	v_mul_f16_sdwa v84, v62, v6 dst_sel:DWORD dst_unused:UNUSED_PAD src0_sel:DWORD src1_sel:WORD_1
	v_mul_f16_sdwa v70, v22, v6 dst_sel:DWORD dst_unused:UNUSED_PAD src0_sel:DWORD src1_sel:WORD_1
	;; [unrolled: 1-line block ×9, first 2 shown]
	v_fma_f16 v76, v21, v5, -v75
	v_fmac_f16_e32 v71, v60, v5
	v_fma_f16 v74, v14, v7, -v85
	v_fma_f16 v20, v20, v8, -v90
	;; [unrolled: 1-line block ×3, first 2 shown]
	v_fmac_f16_e32 v56, v61, v10
	v_sub_f16_e32 v90, v77, v13
	v_sub_f16_e32 v128, v72, v57
	v_mul_f16_sdwa v68, v15, v0 dst_sel:DWORD dst_unused:UNUSED_PAD src0_sel:DWORD src1_sel:WORD_1
	v_mul_f16_sdwa v67, v25, v1 dst_sel:DWORD dst_unused:UNUSED_PAD src0_sel:DWORD src1_sel:WORD_1
	;; [unrolled: 1-line block ×5, first 2 shown]
	v_fma_f16 v75, v22, v6, -v84
	v_fmac_f16_e32 v70, v62, v6
	v_fma_f16 v73, v15, v0, -v86
	v_fma_f16 v25, v25, v1, -v87
	v_fmac_f16_e32 v66, v81, v2
	v_fma_f16 v15, v23, v9, -v91
	v_fmac_f16_e32 v55, v79, v9
	v_add_f16_e32 v23, v77, v13
	v_add_f16_e32 v130, v72, v57
	v_sub_f16_e32 v92, v76, v14
	v_sub_f16_e32 v129, v71, v56
	v_mul_f16_e32 v81, 0xb770, v128
	v_mul_f16_e32 v87, 0xb770, v90
	;; [unrolled: 1-line block ×6, first 2 shown]
	v_fmac_f16_e32 v69, v80, v7
	v_fmac_f16_e32 v68, v59, v0
	;; [unrolled: 1-line block ×3, first 2 shown]
	v_fma_f16 v22, v26, v2, -v88
	v_fma_f16 v21, v19, v3, -v89
	v_fmac_f16_e32 v65, v58, v3
	v_fmac_f16_e32 v64, v78, v8
	v_add_f16_e32 v83, v76, v14
	v_add_f16_e32 v115, v71, v56
	v_sub_f16_e32 v95, v75, v15
	v_sub_f16_e32 v131, v70, v55
	v_mul_f16_e32 v82, 0xba95, v129
	v_mul_f16_e32 v88, 0xba95, v92
	;; [unrolled: 1-line block ×6, first 2 shown]
	v_fmamk_f16 v19, v23, 0x3b15, v81
	v_fma_f16 v58, v130, 0x3b15, -v87
	v_fmamk_f16 v59, v23, 0x388b, v98
	v_fma_f16 v60, v130, 0x388b, -v106
	;; [unrolled: 2-line block ×3, first 2 shown]
	v_add_f16_e32 v91, v75, v15
	v_add_f16_e32 v121, v70, v55
	v_sub_f16_e32 v132, v69, v64
	v_sub_f16_e32 v101, v74, v20
	v_mul_f16_e32 v80, 0xbbf1, v131
	v_mul_f16_e32 v86, 0xbbf1, v95
	v_mul_f16_e32 v100, 0xb3a8, v131
	v_mul_f16_e32 v108, 0xb3a8, v95
	v_mul_f16_e32 v112, 0x3b7b, v131
	v_mul_f16_e32 v124, 0x3b7b, v95
	v_fmamk_f16 v62, v83, 0x388b, v82
	v_fma_f16 v135, v115, 0x388b, -v88
	v_fmamk_f16 v136, v83, 0xb5ac, v99
	v_fma_f16 v137, v115, 0xb5ac, -v107
	v_fmamk_f16 v138, v83, 0xbbc4, v111
	v_fma_f16 v139, v115, 0xbbc4, -v123
	v_add_f16_e32 v19, v12, v19
	v_add_f16_e32 v58, v53, v58
	v_add_f16_e32 v59, v12, v59
	v_add_f16_e32 v60, v53, v60
	v_add_f16_e32 v61, v12, v61
	v_add_f16_e32 v63, v53, v63
	v_add_f16_e32 v97, v74, v20
	v_add_f16_e32 v125, v69, v64
	v_sub_f16_e32 v133, v68, v65
	v_sub_f16_e32 v110, v73, v21
	v_mul_f16_e32 v26, 0xbb7b, v132
	v_mul_f16_e32 v84, 0xbb7b, v101
	v_mul_f16_e32 v94, 0x394e, v132
	v_mul_f16_e32 v103, 0x394e, v101
	v_mul_f16_e32 v113, 0x3770, v132
	v_mul_f16_e32 v120, 0x3770, v101
	v_fmamk_f16 v140, v91, 0x2fb7, v80
	v_fma_f16 v141, v121, 0x2fb7, -v86
	v_fmamk_f16 v142, v91, 0xbbc4, v100
	v_fma_f16 v143, v121, 0xbbc4, -v108
	v_fmamk_f16 v144, v91, 0xb5ac, v112
	v_fma_f16 v145, v121, 0xb5ac, -v124
	v_add_f16_e32 v19, v62, v19
	v_add_f16_e32 v58, v135, v58
	v_add_f16_e32 v59, v136, v59
	v_add_f16_e32 v60, v137, v60
	v_add_f16_e32 v61, v138, v61
	v_add_f16_e32 v62, v139, v63
	;; [unrolled: 22-line block ×3, first 2 shown]
	v_add_f16_e32 v109, v25, v22
	v_add_f16_e32 v127, v67, v66
	v_mul_f16_e32 v24, 0xb3a8, v134
	v_mul_f16_e32 v79, 0xb3a8, v118
	;; [unrolled: 1-line block ×6, first 2 shown]
	v_fmamk_f16 v152, v102, 0xb9fd, v78
	v_fma_f16 v153, v126, 0xb9fd, -v85
	v_fmamk_f16 v154, v102, 0x2fb7, v93
	v_fma_f16 v155, v126, 0x2fb7, -v104
	v_fmamk_f16 v156, v102, 0x388b, v105
	v_fma_f16 v157, v126, 0x388b, -v117
	v_add_f16_e32 v19, v146, v19
	v_add_f16_e32 v58, v147, v58
	;; [unrolled: 1-line block ×6, first 2 shown]
	v_fmamk_f16 v158, v109, 0xbbc4, v24
	v_fma_f16 v159, v127, 0xbbc4, -v79
	v_fmamk_f16 v160, v109, 0x3b15, v89
	v_fma_f16 v161, v127, 0x3b15, -v96
	;; [unrolled: 2-line block ×3, first 2 shown]
	v_add_f16_e32 v19, v152, v19
	v_add_f16_e32 v63, v153, v58
	;; [unrolled: 1-line block ×12, first 2 shown]
	v_add_nc_u32_e32 v19, 0x9c0, v54
	s_and_saveexec_b32 s1, s0
	s_cbranch_execz .LBB0_9
; %bb.8:
	v_mul_f16_e32 v54, 0xb5ac, v130
	v_mul_f16_e32 v138, 0xb9fd, v115
	;; [unrolled: 1-line block ×5, first 2 shown]
	v_fmamk_f16 v139, v90, 0x3b7b, v54
	v_fmamk_f16 v143, v92, 0xb94e, v138
	;; [unrolled: 1-line block ×4, first 2 shown]
	v_mul_f16_e32 v151, 0xbbc4, v126
	v_add_f16_e32 v139, v53, v139
	v_fmamk_f16 v152, v83, 0xb9fd, v150
	v_mul_f16_e32 v153, 0x3770, v131
	v_add_f16_e32 v149, v12, v149
	v_mul_f16_e32 v154, 0x388b, v127
	v_add_f16_e32 v139, v143, v139
	v_mul_f16_e32 v143, 0x2fb7, v125
	v_mul_f16_e32 v155, 0xbbf1, v132
	v_add_f16_e32 v149, v152, v149
	v_fmamk_f16 v152, v91, 0x3b15, v153
	v_add_f16_e32 v139, v147, v139
	v_fmamk_f16 v147, v101, 0x3bf1, v143
	v_mul_f16_e32 v156, 0xb9fd, v130
	v_mul_f16_e32 v157, 0x33a8, v133
	v_add_f16_e32 v149, v152, v149
	v_fmamk_f16 v152, v97, 0x2fb7, v155
	v_add_f16_e32 v139, v147, v139
	v_fmamk_f16 v147, v110, 0xb3a8, v151
	;; [unrolled: 6-line block ×3, first 2 shown]
	v_fmamk_f16 v160, v92, 0xbbf1, v158
	v_mul_f16_e32 v161, 0x388b, v121
	v_add_f16_e32 v149, v152, v149
	v_fmamk_f16 v152, v109, 0x388b, v159
	v_add_f16_e32 v139, v147, v139
	v_fmamk_f16 v147, v90, 0x394e, v156
	v_mul_f16_e32 v162, 0xb94e, v128
	v_mul_f16_e32 v163, 0xbbc4, v125
	v_add_f16_e32 v149, v152, v149
	v_mul_f16_e32 v164, 0x3bf1, v129
	v_add_f16_e32 v147, v53, v147
	v_fmamk_f16 v152, v23, 0xb9fd, v162
	v_mul_f16_e32 v165, 0x3b15, v126
	v_mul_f16_e32 v167, 0xba95, v131
	v_fmamk_f16 v166, v83, 0x2fb7, v164
	v_add_f16_e32 v147, v160, v147
	v_fmamk_f16 v160, v95, 0x3a95, v161
	v_add_f16_e32 v152, v12, v152
	v_mul_f16_e32 v168, 0xb5ac, v127
	v_mul_f16_e32 v169, 0x33a8, v132
	;; [unrolled: 1-line block ×3, first 2 shown]
	v_add_f16_e32 v147, v160, v147
	v_fmamk_f16 v160, v101, 0xb3a8, v163
	v_add_f16_e32 v152, v166, v152
	v_fmamk_f16 v166, v91, 0x388b, v167
	v_mul_f16_e32 v140, 0x388b, v130
	v_mul_f16_e32 v144, 0x2fb7, v130
	v_add_f16_e32 v147, v160, v147
	v_fmamk_f16 v160, v110, 0xb770, v165
	v_mul_f16_e32 v130, 0xbbc4, v130
	v_add_f16_e32 v152, v166, v152
	v_fmamk_f16 v166, v97, 0xbbc4, v169
	;; [unrolled: 3-line block ×5, first 2 shown]
	v_fmamk_f16 v173, v92, 0xb770, v171
	v_mul_f16_e32 v174, 0xb9fd, v121
	v_add_f16_e32 v152, v166, v152
	v_fmamk_f16 v166, v109, 0xb5ac, v172
	v_add_f16_e32 v160, v53, v160
	v_mul_f16_e32 v128, 0xb3a8, v128
	v_mul_f16_e32 v175, 0x388b, v125
	v_mul_f16_e32 v129, 0x3770, v129
	v_add_f16_e32 v152, v166, v152
	v_add_f16_e32 v160, v173, v160
	v_fmamk_f16 v173, v95, 0x394e, v174
	v_fmamk_f16 v166, v23, 0xbbc4, v128
	v_fmac_f16_e32 v130, 0xb3a8, v90
	v_mul_f16_e32 v176, 0xb5ac, v126
	v_fmamk_f16 v177, v83, 0x3b15, v129
	v_add_f16_e32 v160, v173, v160
	v_fmamk_f16 v173, v101, 0xba95, v175
	v_add_f16_e32 v166, v12, v166
	v_mul_f16_e32 v131, 0xb94e, v131
	v_add_f16_e32 v130, v53, v130
	v_fmac_f16_e32 v171, 0x3770, v92
	v_fmac_f16_e32 v156, 0xb94e, v90
	v_add_f16_e32 v160, v173, v160
	v_fmamk_f16 v173, v110, 0x3b7b, v176
	v_add_f16_e32 v166, v177, v166
	v_fmamk_f16 v177, v91, 0xb9fd, v131
	v_mul_f16_e32 v132, 0x3a95, v132
	v_add_f16_e32 v130, v171, v130
	v_fmac_f16_e32 v174, 0xb94e, v95
	v_add_f16_e32 v156, v53, v156
	v_fmac_f16_e32 v158, 0x3bf1, v92
	v_mul_f16_e32 v135, 0x3b15, v23
	v_mul_f16_e32 v137, 0x388b, v23
	;; [unrolled: 1-line block ×3, first 2 shown]
	v_add_f16_e32 v160, v173, v160
	v_mul_f16_e32 v173, 0x2fb7, v127
	v_add_f16_e32 v166, v177, v166
	v_fmamk_f16 v177, v97, 0x388b, v132
	v_add_f16_e32 v130, v174, v130
	v_fmac_f16_e32 v175, 0x3a95, v101
	v_fma_f16 v128, v23, 0xbbc4, -v128
	v_add_f16_e32 v156, v158, v156
	v_fmac_f16_e32 v161, 0xba95, v95
	v_fma_f16 v162, v23, 0xb9fd, -v162
	v_fma_f16 v23, v23, 0xb5ac, -v146
	v_add_f16_e32 v77, v12, v77
	v_add_f16_e32 v72, v53, v72
	v_mul_f16_e32 v145, 0x388b, v83
	v_mul_f16_e32 v171, 0xb5ac, v83
	v_add_f16_e32 v166, v177, v166
	v_fmamk_f16 v177, v118, 0xbbf1, v173
	v_add_f16_e32 v130, v175, v130
	v_mul_f16_e32 v175, 0xbbc4, v83
	v_add_f16_e32 v128, v12, v128
	v_fma_f16 v129, v83, 0x3b15, -v129
	v_add_f16_e32 v156, v161, v156
	v_fmac_f16_e32 v163, 0x33a8, v101
	v_fma_f16 v164, v83, 0x2fb7, -v164
	v_fma_f16 v83, v83, 0xb9fd, -v150
	v_add_f16_e32 v23, v12, v23
	v_add_f16_e32 v76, v77, v76
	;; [unrolled: 1-line block ×3, first 2 shown]
	v_mul_f16_e32 v148, 0x388b, v115
	v_add_f16_e32 v160, v177, v160
	v_mul_f16_e32 v177, 0xb5ac, v115
	v_fmac_f16_e32 v176, 0xbb7b, v110
	v_mul_f16_e32 v115, 0xbbc4, v115
	v_add_f16_e32 v128, v129, v128
	v_fma_f16 v131, v91, 0xb9fd, -v131
	v_add_f16_e32 v156, v163, v156
	v_fmac_f16_e32 v165, 0x3770, v110
	v_fmac_f16_e32 v54, 0xbb7b, v90
	;; [unrolled: 1-line block ×3, first 2 shown]
	v_add_f16_e32 v23, v83, v23
	v_fma_f16 v83, v91, 0x3b15, -v153
	v_add_f16_e32 v101, v122, v144
	v_add_f16_e32 v106, v106, v140
	;; [unrolled: 1-line block ×5, first 2 shown]
	v_mul_f16_e32 v133, 0xbb7b, v133
	v_add_f16_e32 v130, v176, v130
	v_mul_f16_e32 v176, 0x2fb7, v121
	v_mul_f16_e32 v158, 0xbbc4, v121
	;; [unrolled: 1-line block ×4, first 2 shown]
	v_add_f16_e32 v128, v131, v128
	v_fma_f16 v131, v97, 0x388b, -v132
	v_mul_f16_e32 v163, 0xb9fd, v97
	v_add_f16_e32 v156, v165, v156
	v_mul_f16_e32 v165, 0x3b15, v97
	v_add_f16_e32 v54, v53, v54
	v_fma_f16 v169, v97, 0xbbc4, -v169
	v_add_f16_e32 v23, v83, v23
	v_fma_f16 v83, v97, 0x2fb7, -v155
	v_add_f16_e32 v97, v53, v101
	v_add_f16_e32 v101, v123, v115
	;; [unrolled: 1-line block ×7, first 2 shown]
	v_fmamk_f16 v174, v102, 0xb5ac, v133
	v_mul_f16_e32 v134, 0x3bf1, v134
	v_mul_f16_e32 v132, 0xb5ac, v125
	v_add_f16_e32 v128, v131, v128
	v_mul_f16_e32 v131, 0xb9fd, v125
	v_mul_f16_e32 v125, 0x3b15, v125
	v_fmac_f16_e32 v168, 0xbb7b, v118
	v_add_f16_e32 v162, v12, v162
	v_add_f16_e32 v23, v83, v23
	v_fma_f16 v83, v102, 0xbbc4, -v157
	v_add_f16_e32 v97, v101, v97
	v_add_f16_e32 v101, v124, v121
	v_add_f16_e32 v53, v71, v53
	v_add_f16_e32 v71, v72, v73
	v_add_f16_e32 v68, v69, v68
	v_add_f16_e32 v166, v174, v166
	v_fmamk_f16 v174, v109, 0x2fb7, v134
	v_fmac_f16_e32 v173, 0x3bf1, v118
	v_add_f16_e32 v156, v168, v156
	v_mul_f16_e32 v168, 0xb9fd, v126
	v_add_f16_e32 v162, v164, v162
	v_mul_f16_e32 v164, 0x2fb7, v126
	v_fmac_f16_e32 v138, 0x394e, v92
	v_mul_f16_e32 v126, 0x388b, v126
	v_add_f16_e32 v23, v83, v23
	v_sub_f16_e32 v83, v141, v116
	v_add_f16_e32 v97, v101, v97
	v_add_f16_e32 v101, v120, v125
	v_sub_f16_e32 v98, v137, v98
	v_sub_f16_e32 v70, v135, v81
	v_add_f16_e32 v25, v71, v25
	v_add_f16_e32 v67, v68, v67
	;; [unrolled: 1-line block ×3, first 2 shown]
	v_mul_f16_e32 v174, 0x2fb7, v91
	v_add_f16_e32 v130, v173, v130
	v_mul_f16_e32 v173, 0xbbc4, v91
	v_mul_f16_e32 v129, 0xb5ac, v91
	v_add_f16_e32 v54, v138, v54
	v_mul_f16_e32 v138, 0xbbc4, v127
	v_mul_f16_e32 v146, 0x3b15, v127
	;; [unrolled: 1-line block ×3, first 2 shown]
	v_fmac_f16_e32 v151, 0x33a8, v110
	v_add_f16_e32 v83, v12, v83
	v_sub_f16_e32 v110, v175, v111
	v_add_f16_e32 v97, v101, v97
	v_add_f16_e32 v101, v117, v126
	;; [unrolled: 1-line block ×4, first 2 shown]
	v_sub_f16_e32 v99, v171, v99
	v_add_f16_e32 v12, v12, v70
	v_sub_f16_e32 v69, v145, v82
	v_add_f16_e32 v22, v25, v22
	v_add_f16_e32 v66, v67, v66
	v_fma_f16 v133, v102, 0xb5ac, -v133
	v_add_f16_e32 v83, v110, v83
	v_sub_f16_e32 v110, v129, v112
	v_add_f16_e32 v97, v101, v97
	v_add_f16_e32 v101, v119, v127
	;; [unrolled: 1-line block ×5, first 2 shown]
	v_sub_f16_e32 v99, v173, v100
	v_add_f16_e32 v72, v86, v176
	v_add_f16_e32 v12, v69, v12
	v_sub_f16_e32 v25, v174, v80
	v_add_f16_e32 v21, v22, v21
	v_add_f16_e32 v22, v66, v65
	;; [unrolled: 1-line block ×3, first 2 shown]
	v_mul_f16_e32 v133, 0xb9fd, v102
	v_mul_f16_e32 v90, 0x2fb7, v102
	v_fma_f16 v167, v91, 0x388b, -v167
	v_mul_f16_e32 v92, 0x388b, v102
	v_fmac_f16_e32 v142, 0x3770, v95
	v_add_f16_e32 v83, v110, v83
	v_sub_f16_e32 v108, v165, v113
	v_add_f16_e32 v97, v101, v97
	v_add_f16_e32 v101, v107, v106
	;; [unrolled: 1-line block ×4, first 2 shown]
	v_sub_f16_e32 v94, v163, v94
	v_add_f16_e32 v53, v72, v53
	v_add_f16_e32 v68, v84, v132
	;; [unrolled: 1-line block ×3, first 2 shown]
	v_sub_f16_e32 v25, v161, v26
	v_add_f16_e32 v20, v21, v20
	v_add_f16_e32 v22, v22, v64
	;; [unrolled: 1-line block ×3, first 2 shown]
	v_mul_f16_e32 v167, 0xbbc4, v109
	v_mul_f16_e32 v95, 0x3b15, v109
	;; [unrolled: 1-line block ×3, first 2 shown]
	v_add_f16_e32 v54, v142, v54
	v_add_f16_e32 v83, v108, v83
	v_sub_f16_e32 v92, v92, v105
	v_add_f16_e32 v101, v103, v101
	v_add_f16_e32 v103, v104, v164
	v_add_f16_e32 v87, v94, v98
	v_sub_f16_e32 v76, v90, v93
	v_add_f16_e32 v53, v68, v53
	;; [unrolled: 4-line block ×3, first 2 shown]
	v_mov_b32_e32 v20, 0x4e
	v_add_f16_e32 v22, v22, v55
	v_add_f16_e32 v162, v169, v162
	v_fma_f16 v169, v102, 0x3b15, -v170
	v_add_f16_e32 v54, v143, v54
	v_add_f16_e32 v83, v92, v83
	v_sub_f16_e32 v92, v150, v114
	v_add_f16_e32 v100, v103, v101
	v_add_f16_e32 v96, v96, v146
	;; [unrolled: 1-line block ×3, first 2 shown]
	v_sub_f16_e32 v26, v95, v89
	v_add_f16_e32 v21, v67, v53
	v_add_f16_e32 v53, v79, v138
	;; [unrolled: 1-line block ×4, first 2 shown]
	v_mul_u32_u24_sdwa v15, v43, v20 dst_sel:DWORD dst_unused:UNUSED_PAD src0_sel:WORD_0 src1_sel:DWORD
	v_add_f16_e32 v20, v22, v56
	v_sub_f16_e32 v22, v167, v24
	v_fma_f16 v134, v109, 0x2fb7, -v134
	v_add_f16_e32 v91, v169, v162
	v_add_f16_e32 v54, v151, v54
	v_fmac_f16_e32 v154, 0x3a95, v118
	v_fma_f16 v102, v109, 0xb5ac, -v172
	v_fma_f16 v109, v109, 0x388b, -v159
	v_add_f16_e32 v77, v96, v100
	v_add_f16_e32 v21, v53, v21
	;; [unrolled: 1-line block ×3, first 2 shown]
	v_add_nc_u32_e32 v14, v15, v42
	v_add_f16_e32 v15, v20, v57
	v_add_f16_e32 v12, v22, v12
	;; [unrolled: 1-line block ×5, first 2 shown]
	v_lshl_add_u32 v14, v14, 2, v41
	v_pack_b32_f16 v13, v13, v15
	v_pack_b32_f16 v12, v12, v21
	;; [unrolled: 1-line block ×4, first 2 shown]
	v_add_f16_e32 v21, v109, v23
	v_add_f16_e32 v22, v102, v91
	;; [unrolled: 1-line block ×3, first 2 shown]
	ds_write2_b32 v14, v13, v12 offset1:6
	ds_write2_b32 v14, v15, v20 offset0:12 offset1:18
	v_pack_b32_f16 v20, v166, v160
	v_pack_b32_f16 v12, v21, v54
	;; [unrolled: 1-line block ×6, first 2 shown]
	v_perm_b32 v23, v63, v62, 0x5040100
	v_perm_b32 v24, v61, v60, 0x5040100
	v_perm_b32 v25, v59, v58, 0x5040100
	ds_write2_b32 v14, v12, v13 offset0:24 offset1:30
	ds_write2_b32 v14, v15, v20 offset0:36 offset1:42
	;; [unrolled: 1-line block ×4, first 2 shown]
	ds_write_b32 v14, v25 offset:288
.LBB0_9:
	s_or_b32 exec_lo, exec_lo, s1
	v_lshlrev_b32_e32 v57, 4, v38
	s_waitcnt lgkmcnt(0)
	s_barrier
	buffer_gl0_inv
	v_add_nc_u32_e32 v23, 0x400, v36
	global_load_dwordx4 v[12:15], v57, s[14:15] offset:304
	v_add_nc_u32_e32 v20, 0x600, v36
	v_add_nc_u32_e32 v24, 0x800, v36
	ds_read2_b32 v[21:22], v36 offset1:78
	ds_read2_b32 v[25:26], v36 offset0:156 offset1:234
	ds_read2_b32 v[53:54], v23 offset0:56 offset1:134
	;; [unrolled: 1-line block ×4, first 2 shown]
	v_mul_i32_i24_e32 v66, -12, v38
	v_add_co_u32 v57, s1, s14, v57
	v_add_co_ci_u32_e64 v68, null, s15, 0, s1
	v_mul_hi_i32_i24_e32 v67, -12, v38
	v_add_co_u32 v66, s1, v57, v66
	s_waitcnt vmcnt(0) lgkmcnt(0)
	s_barrier
	v_add_co_ci_u32_e64 v67, s1, v68, v67, s1
	v_add_co_u32 v68, s1, 0x800, v66
	buffer_gl0_inv
	v_add_co_ci_u32_e64 v69, s1, 0, v67, s1
	v_lshrrev_b32_e32 v70, 16, v25
	v_lshrrev_b32_e32 v73, 16, v53
	;; [unrolled: 1-line block ×10, first 2 shown]
	v_lshl_add_u32 v52, v52, 2, v27
	v_lshlrev_b32_e32 v27, 2, v38
	v_add_co_u32 v27, s1, s12, v27
	v_mul_f16_sdwa v79, v70, v12 dst_sel:DWORD dst_unused:UNUSED_PAD src0_sel:DWORD src1_sel:WORD_1
	v_mul_f16_sdwa v80, v25, v12 dst_sel:DWORD dst_unused:UNUSED_PAD src0_sel:DWORD src1_sel:WORD_1
	;; [unrolled: 1-line block ×16, first 2 shown]
	v_fma_f16 v25, v25, v12, -v79
	v_fmac_f16_e32 v80, v70, v12
	v_fma_f16 v53, v53, v13, -v81
	v_fmac_f16_e32 v82, v73, v13
	;; [unrolled: 2-line block ×8, first 2 shown]
	v_add_f16_e32 v70, v21, v25
	v_add_f16_e32 v72, v53, v55
	v_sub_f16_e32 v75, v25, v53
	v_sub_f16_e32 v76, v64, v55
	v_add_f16_e32 v77, v25, v64
	v_add_f16_e32 v81, v57, v80
	;; [unrolled: 1-line block ×4, first 2 shown]
	v_sub_f16_e32 v73, v80, v86
	v_sub_f16_e32 v78, v53, v25
	;; [unrolled: 1-line block ×7, first 2 shown]
	v_add_f16_e32 v95, v22, v26
	v_add_f16_e32 v96, v54, v56
	v_add_f16_e32 v101, v26, v65
	v_add_f16_e32 v104, v71, v88
	v_add_f16_e32 v105, v90, v92
	v_add_f16_e32 v109, v88, v94
	v_sub_f16_e32 v25, v25, v64
	v_sub_f16_e32 v85, v53, v55
	v_add_f16_e32 v53, v70, v53
	v_fma_f16 v70, -0.5, v72, v21
	v_add_f16_e32 v72, v75, v76
	v_fma_f16 v21, -0.5, v77, v21
	;; [unrolled: 2-line block ×3, first 2 shown]
	v_sub_f16_e32 v74, v82, v84
	v_fmac_f16_e32 v57, -0.5, v91
	v_sub_f16_e32 v97, v88, v94
	v_sub_f16_e32 v98, v90, v92
	;; [unrolled: 1-line block ×6, first 2 shown]
	v_add_f16_e32 v75, v78, v79
	v_add_f16_e32 v78, v87, v89
	;; [unrolled: 1-line block ×4, first 2 shown]
	v_fma_f16 v80, -0.5, v96, v22
	v_fmac_f16_e32 v22, -0.5, v101
	v_add_f16_e32 v83, v104, v90
	v_fma_f16 v87, -0.5, v105, v71
	v_fmac_f16_e32 v71, -0.5, v109
	v_add_f16_e32 v53, v53, v55
	v_fmamk_f16 v55, v73, 0x3b9c, v70
	v_add_f16_e32 v76, v76, v84
	v_fmamk_f16 v84, v25, 0xbb9c, v77
	v_sub_f16_e32 v107, v88, v90
	v_sub_f16_e32 v88, v90, v88
	v_fmamk_f16 v90, v74, 0xbb9c, v21
	v_fmac_f16_e32 v21, 0x3b9c, v74
	v_fmamk_f16 v91, v85, 0x3b9c, v57
	v_fmac_f16_e32 v57, 0xbb9c, v85
	v_fmac_f16_e32 v70, 0xbb9c, v73
	;; [unrolled: 1-line block ×3, first 2 shown]
	v_sub_f16_e32 v100, v65, v56
	v_sub_f16_e32 v103, v56, v65
	;; [unrolled: 1-line block ×4, first 2 shown]
	v_add_f16_e32 v54, v54, v56
	v_fmamk_f16 v56, v97, 0x3b9c, v80
	v_fmamk_f16 v93, v98, 0xbb9c, v22
	v_add_f16_e32 v83, v83, v92
	v_fmamk_f16 v92, v26, 0xbb9c, v87
	v_fmamk_f16 v95, v106, 0x3b9c, v71
	v_fmac_f16_e32 v80, 0xbb9c, v97
	v_fmac_f16_e32 v22, 0x3b9c, v98
	;; [unrolled: 1-line block ×12, first 2 shown]
	v_add_f16_e32 v81, v99, v100
	v_add_f16_e32 v82, v102, v103
	;; [unrolled: 1-line block ×4, first 2 shown]
	v_fmac_f16_e32 v56, 0x38b4, v98
	v_fmac_f16_e32 v93, 0x38b4, v97
	;; [unrolled: 1-line block ×8, first 2 shown]
	v_add_f16_e32 v53, v53, v64
	v_add_f16_e32 v64, v76, v86
	v_fmac_f16_e32 v55, 0x34f2, v72
	v_fmac_f16_e32 v84, 0x34f2, v78
	v_add_f16_e32 v25, v54, v65
	v_add_f16_e32 v54, v83, v94
	v_fmac_f16_e32 v90, 0x34f2, v75
	v_fmac_f16_e32 v21, 0x34f2, v75
	v_fmac_f16_e32 v91, 0x34f2, v79
	v_fmac_f16_e32 v57, 0x34f2, v79
	v_fmac_f16_e32 v70, 0x34f2, v72
	v_fmac_f16_e32 v77, 0x34f2, v78
	v_fmac_f16_e32 v56, 0x34f2, v81
	v_fmac_f16_e32 v93, 0x34f2, v82
	v_fmac_f16_e32 v92, 0x34f2, v89
	v_fmac_f16_e32 v95, 0x34f2, v88
	v_fmac_f16_e32 v80, 0x34f2, v81
	v_fmac_f16_e32 v22, 0x34f2, v82
	v_fmac_f16_e32 v87, 0x34f2, v89
	v_fmac_f16_e32 v71, 0x34f2, v88
	v_pack_b32_f16 v26, v53, v64
	v_pack_b32_f16 v53, v55, v84
	;; [unrolled: 1-line block ×10, first 2 shown]
	ds_write2_b32 v36, v26, v53 offset1:78
	ds_write2_b32 v36, v54, v21 offset0:156 offset1:234
	ds_write2_b32 v23, v55, v25 offset0:56 offset1:134
	;; [unrolled: 1-line block ×4, first 2 shown]
	s_waitcnt lgkmcnt(0)
	s_barrier
	buffer_gl0_inv
	s_clause 0x4
	global_load_dword v57, v[66:67], off offset:1552
	global_load_dword v55, v[66:67], off offset:1864
	;; [unrolled: 1-line block ×5, first 2 shown]
	ds_read2_b32 v[21:22], v36 offset1:78
	ds_read2_b32 v[25:26], v23 offset0:56 offset1:134
	ds_read2_b32 v[64:65], v20 offset0:84 offset1:162
	;; [unrolled: 1-line block ×4, first 2 shown]
	v_add_co_ci_u32_e64 v75, null, s13, 0, s1
	v_add_co_u32 v70, s1, 0xc30, v27
	v_add_nc_u32_e32 v76, 0x800, v52
	v_add_co_ci_u32_e64 v71, s1, 0, v75, s1
	v_add_co_u32 v72, s1, 0x800, v27
	v_add_co_ci_u32_e64 v73, s1, 0, v75, s1
	v_add_co_u32 v74, s1, 0x1000, v27
	v_add_co_ci_u32_e64 v75, s1, 0, v75, s1
	s_waitcnt lgkmcnt(4)
	v_lshrrev_b32_e32 v27, 16, v21
	s_waitcnt lgkmcnt(3)
	v_lshrrev_b32_e32 v77, 16, v26
	;; [unrolled: 2-line block ×3, first 2 shown]
	v_lshrrev_b32_e32 v81, 16, v65
	s_waitcnt lgkmcnt(0)
	v_lshrrev_b32_e32 v83, 16, v68
	v_lshrrev_b32_e32 v85, 16, v69
	;; [unrolled: 1-line block ×6, first 2 shown]
	s_waitcnt vmcnt(4)
	v_mul_f16_sdwa v86, v77, v57 dst_sel:DWORD dst_unused:UNUSED_PAD src0_sel:DWORD src1_sel:WORD_1
	v_mul_f16_sdwa v87, v26, v57 dst_sel:DWORD dst_unused:UNUSED_PAD src0_sel:DWORD src1_sel:WORD_1
	s_waitcnt vmcnt(3)
	v_mul_f16_sdwa v88, v79, v55 dst_sel:DWORD dst_unused:UNUSED_PAD src0_sel:DWORD src1_sel:WORD_1
	v_mul_f16_sdwa v89, v64, v55 dst_sel:DWORD dst_unused:UNUSED_PAD src0_sel:DWORD src1_sel:WORD_1
	;; [unrolled: 3-line block ×5, first 2 shown]
	v_fma_f16 v26, v26, v57, -v86
	v_fmac_f16_e32 v87, v77, v57
	v_fma_f16 v64, v64, v55, -v88
	v_fmac_f16_e32 v89, v79, v55
	;; [unrolled: 2-line block ×5, first 2 shown]
	v_sub_f16_e32 v26, v21, v26
	v_sub_f16_e32 v77, v27, v87
	;; [unrolled: 1-line block ×10, first 2 shown]
	v_fma_f16 v21, v21, 2.0, -v26
	v_fma_f16 v27, v27, 2.0, -v77
	;; [unrolled: 1-line block ×10, first 2 shown]
	v_pack_b32_f16 v26, v26, v77
	v_pack_b32_f16 v21, v21, v27
	;; [unrolled: 1-line block ×10, first 2 shown]
	ds_write_b32 v36, v26 offset:1560
	ds_write2_b32 v36, v21, v22 offset1:78
	ds_write_b32 v36, v64 offset:1872
	ds_write2_b32 v36, v27, v66 offset0:156 offset1:234
	ds_write2_b32 v76, v65, v68 offset0:34 offset1:112
	ds_write_b32 v36, v25 offset:1248
	ds_write_b32 v52, v69 offset:2808
	s_waitcnt lgkmcnt(0)
	s_barrier
	buffer_gl0_inv
	s_clause 0x9
	global_load_dword v27, v[72:73], off offset:1072
	global_load_dword v72, v[70:71], off offset:1560
	;; [unrolled: 1-line block ×10, first 2 shown]
	ds_read2_b32 v[21:22], v36 offset1:78
	ds_read2_b32 v[25:26], v23 offset0:56 offset1:134
	ds_read2_b32 v[64:65], v20 offset0:84 offset1:162
	;; [unrolled: 1-line block ×4, first 2 shown]
	s_waitcnt lgkmcnt(4)
	v_lshrrev_b32_e32 v74, 16, v21
	v_lshrrev_b32_e32 v81, 16, v22
	s_waitcnt lgkmcnt(2)
	v_lshrrev_b32_e32 v82, 16, v64
	v_lshrrev_b32_e32 v84, 16, v65
	;; [unrolled: 3-line block ×3, first 2 shown]
	v_lshrrev_b32_e32 v75, 16, v26
	v_lshrrev_b32_e32 v87, 16, v25
	s_waitcnt lgkmcnt(0)
	v_lshrrev_b32_e32 v86, 16, v68
	v_lshrrev_b32_e32 v88, 16, v69
	s_waitcnt vmcnt(9)
	v_mul_f16_sdwa v89, v74, v27 dst_sel:DWORD dst_unused:UNUSED_PAD src0_sel:DWORD src1_sel:WORD_1
	v_mul_f16_sdwa v90, v21, v27 dst_sel:DWORD dst_unused:UNUSED_PAD src0_sel:DWORD src1_sel:WORD_1
	s_waitcnt vmcnt(7)
	v_mul_f16_sdwa v93, v81, v73 dst_sel:DWORD dst_unused:UNUSED_PAD src0_sel:DWORD src1_sel:WORD_1
	v_mul_f16_sdwa v94, v22, v73 dst_sel:DWORD dst_unused:UNUSED_PAD src0_sel:DWORD src1_sel:WORD_1
	;; [unrolled: 3-line block ×3, first 2 shown]
	v_mul_f16_sdwa v99, v84, v76 dst_sel:DWORD dst_unused:UNUSED_PAD src0_sel:DWORD src1_sel:WORD_1
	v_mul_f16_sdwa v100, v65, v76 dst_sel:DWORD dst_unused:UNUSED_PAD src0_sel:DWORD src1_sel:WORD_1
	s_waitcnt vmcnt(4)
	v_mul_f16_sdwa v97, v83, v78 dst_sel:DWORD dst_unused:UNUSED_PAD src0_sel:DWORD src1_sel:WORD_1
	v_mul_f16_sdwa v98, v66, v78 dst_sel:DWORD dst_unused:UNUSED_PAD src0_sel:DWORD src1_sel:WORD_1
	s_waitcnt vmcnt(3)
	v_mul_f16_sdwa v101, v85, v79 dst_sel:DWORD dst_unused:UNUSED_PAD src0_sel:DWORD src1_sel:WORD_1
	v_mul_f16_sdwa v102, v67, v79 dst_sel:DWORD dst_unused:UNUSED_PAD src0_sel:DWORD src1_sel:WORD_1
	v_mul_f16_sdwa v91, v75, v72 dst_sel:DWORD dst_unused:UNUSED_PAD src0_sel:DWORD src1_sel:WORD_1
	v_mul_f16_sdwa v92, v26, v72 dst_sel:DWORD dst_unused:UNUSED_PAD src0_sel:DWORD src1_sel:WORD_1
	s_waitcnt vmcnt(1)
	v_mul_f16_sdwa v105, v87, v70 dst_sel:DWORD dst_unused:UNUSED_PAD src0_sel:DWORD src1_sel:WORD_1
	v_mul_f16_sdwa v106, v25, v70 dst_sel:DWORD dst_unused:UNUSED_PAD src0_sel:DWORD src1_sel:WORD_1
	;; [unrolled: 5-line block ×3, first 2 shown]
	v_fma_f16 v21, v21, v27, -v89
	v_fmac_f16_e32 v90, v74, v27
	v_fma_f16 v22, v22, v73, -v93
	v_fmac_f16_e32 v94, v81, v73
	;; [unrolled: 2-line block ×10, first 2 shown]
	v_pack_b32_f16 v21, v21, v90
	v_pack_b32_f16 v22, v22, v94
	v_pack_b32_f16 v27, v27, v96
	v_pack_b32_f16 v65, v65, v100
	v_pack_b32_f16 v64, v64, v98
	v_pack_b32_f16 v66, v66, v102
	v_pack_b32_f16 v26, v26, v92
	v_pack_b32_f16 v25, v25, v106
	v_pack_b32_f16 v67, v67, v104
	v_pack_b32_f16 v68, v68, v108
	ds_write2_b32 v36, v21, v22 offset1:78
	ds_write2_b32 v20, v27, v65 offset0:84 offset1:162
	ds_write2_b32 v36, v64, v66 offset0:156 offset1:234
	;; [unrolled: 1-line block ×4, first 2 shown]
	s_waitcnt lgkmcnt(0)
	s_barrier
	buffer_gl0_inv
	ds_read2_b32 v[21:22], v23 offset0:56 offset1:134
	ds_read2_b32 v[25:26], v36 offset1:78
	ds_read2_b32 v[64:65], v20 offset0:84 offset1:162
	ds_read2_b32 v[66:67], v36 offset0:156 offset1:234
	;; [unrolled: 1-line block ×3, first 2 shown]
	v_add_nc_u32_e32 v73, 0x200, v36
	s_waitcnt lgkmcnt(0)
	s_barrier
	buffer_gl0_inv
	v_pk_add_f16 v70, v25, v22 neg_lo:[0,1] neg_hi:[0,1]
	v_pk_add_f16 v72, v26, v64 neg_lo:[0,1] neg_hi:[0,1]
	;; [unrolled: 1-line block ×5, first 2 shown]
	v_pk_fma_f16 v69, v25, 2.0, v70 op_sel_hi:[1,0,1] neg_lo:[0,0,1] neg_hi:[0,0,1]
	v_pk_fma_f16 v71, v26, 2.0, v72 op_sel_hi:[1,0,1] neg_lo:[0,0,1] neg_hi:[0,0,1]
	;; [unrolled: 1-line block ×5, first 2 shown]
	ds_write_b64 v28, v[69:70]
	ds_write_b64 v45, v[71:72]
	;; [unrolled: 1-line block ×5, first 2 shown]
	s_waitcnt lgkmcnt(0)
	s_barrier
	buffer_gl0_inv
	ds_read2_b32 v[19:20], v36 offset1:78
	ds_read2_b32 v[21:22], v73 offset0:28 offset1:132
	ds_read2_b32 v[25:26], v24 offset0:8 offset1:86
	;; [unrolled: 1-line block ×3, first 2 shown]
	ds_read_b32 v28, v36 offset:2704
	s_and_saveexec_b32 s1, vcc_lo
	s_cbranch_execz .LBB0_11
; %bb.10:
	ds_read_b32 v62, v36 offset:1976
	ds_read_b32 v60, v36 offset:3016
	;; [unrolled: 1-line block ×3, first 2 shown]
	s_waitcnt lgkmcnt(2)
	v_lshrrev_b32_e32 v63, 16, v62
	s_waitcnt lgkmcnt(1)
	v_lshrrev_b32_e32 v61, 16, v60
.LBB0_11:
	s_or_b32 exec_lo, exec_lo, s1
	s_waitcnt lgkmcnt(3)
	v_lshrrev_b32_e32 v45, 16, v22
	s_waitcnt lgkmcnt(2)
	v_lshrrev_b32_e32 v46, 16, v25
	;; [unrolled: 2-line block ×3, first 2 shown]
	v_mul_f16_sdwa v70, v17, v22 dst_sel:DWORD dst_unused:UNUSED_PAD src0_sel:WORD_1 src1_sel:DWORD
	v_lshrrev_b32_e32 v69, 16, v24
	v_mul_f16_sdwa v68, v17, v45 dst_sel:DWORD dst_unused:UNUSED_PAD src0_sel:WORD_1 src1_sel:DWORD
	v_mul_f16_sdwa v72, v18, v46 dst_sel:DWORD dst_unused:UNUSED_PAD src0_sel:WORD_1 src1_sel:DWORD
	v_lshrrev_b32_e32 v65, 16, v26
	v_fma_f16 v45, v17, v45, -v70
	v_mul_f16_sdwa v70, v17, v47 dst_sel:DWORD dst_unused:UNUSED_PAD src0_sel:WORD_1 src1_sel:DWORD
	s_waitcnt lgkmcnt(0)
	v_lshrrev_b32_e32 v71, 16, v28
	v_fmac_f16_e32 v68, v17, v22
	v_mul_f16_sdwa v22, v18, v25 dst_sel:DWORD dst_unused:UNUSED_PAD src0_sel:WORD_1 src1_sel:DWORD
	v_fmac_f16_e32 v72, v18, v25
	v_mul_f16_sdwa v25, v17, v23 dst_sel:DWORD dst_unused:UNUSED_PAD src0_sel:WORD_1 src1_sel:DWORD
	;; [unrolled: 2-line block ×3, first 2 shown]
	v_mul_f16_sdwa v74, v17, v69 dst_sel:DWORD dst_unused:UNUSED_PAD src0_sel:WORD_1 src1_sel:DWORD
	v_fma_f16 v22, v18, v46, -v22
	v_mul_f16_sdwa v46, v18, v65 dst_sel:DWORD dst_unused:UNUSED_PAD src0_sel:WORD_1 src1_sel:DWORD
	v_fma_f16 v73, v17, v47, -v25
	;; [unrolled: 2-line block ×3, first 2 shown]
	v_mul_f16_sdwa v65, v18, v71 dst_sel:DWORD dst_unused:UNUSED_PAD src0_sel:WORD_1 src1_sel:DWORD
	v_fmac_f16_e32 v74, v17, v24
	v_mul_f16_sdwa v24, v18, v28 dst_sel:DWORD dst_unused:UNUSED_PAD src0_sel:WORD_1 src1_sel:DWORD
	v_lshrrev_b32_e32 v64, 16, v19
	v_fma_f16 v69, v17, v69, -v25
	v_mul_f16_sdwa v75, v17, v63 dst_sel:DWORD dst_unused:UNUSED_PAD src0_sel:WORD_1 src1_sel:DWORD
	v_fmac_f16_e32 v65, v18, v28
	v_mul_f16_sdwa v25, v17, v62 dst_sel:DWORD dst_unused:UNUSED_PAD src0_sel:WORD_1 src1_sel:DWORD
	v_fma_f16 v28, v18, v71, -v24
	v_mul_f16_sdwa v76, v18, v61 dst_sel:DWORD dst_unused:UNUSED_PAD src0_sel:WORD_1 src1_sel:DWORD
	v_mul_f16_sdwa v24, v18, v60 dst_sel:DWORD dst_unused:UNUSED_PAD src0_sel:WORD_1 src1_sel:DWORD
	v_fmac_f16_e32 v46, v18, v26
	v_fmac_f16_e32 v75, v17, v62
	v_fma_f16 v77, v17, v63, -v25
	v_add_f16_e32 v17, v68, v72
	v_fmac_f16_e32 v76, v18, v60
	v_add_f16_e32 v26, v19, v68
	v_fma_f16 v78, v18, v61, -v24
	v_add_f16_e32 v18, v45, v22
	v_add_f16_e32 v24, v64, v45
	v_lshrrev_b32_e32 v66, 16, v20
	v_fma_f16 v25, -0.5, v17, v19
	v_sub_f16_e32 v19, v45, v22
	v_add_f16_e32 v17, v26, v72
	v_fmac_f16_e32 v64, -0.5, v18
	v_sub_f16_e32 v26, v68, v72
	v_add_f16_e32 v47, v24, v22
	v_add_f16_e32 v22, v20, v70
	v_fmamk_f16 v18, v19, 0xbaee, v25
	v_fmac_f16_e32 v25, 0x3aee, v19
	v_add_f16_e32 v19, v70, v46
	v_fmamk_f16 v61, v26, 0x3aee, v64
	v_fmac_f16_e32 v64, 0xbaee, v26
	v_add_f16_e32 v24, v73, v23
	v_add_f16_e32 v26, v22, v46
	;; [unrolled: 1-line block ×3, first 2 shown]
	v_lshrrev_b32_e32 v67, 16, v21
	v_fmac_f16_e32 v20, -0.5, v19
	v_sub_f16_e32 v45, v73, v23
	v_fmac_f16_e32 v66, -0.5, v24
	v_sub_f16_e32 v24, v70, v46
	v_add_f16_e32 v60, v22, v23
	v_add_f16_e32 v22, v74, v65
	;; [unrolled: 1-line block ×3, first 2 shown]
	v_fmamk_f16 v19, v45, 0xbaee, v20
	v_fmac_f16_e32 v20, 0x3aee, v45
	v_fmamk_f16 v63, v24, 0x3aee, v66
	v_fmac_f16_e32 v66, 0xbaee, v24
	v_add_f16_e32 v24, v21, v74
	v_fmac_f16_e32 v21, -0.5, v22
	v_sub_f16_e32 v22, v69, v28
	v_add_f16_e32 v45, v67, v69
	v_fmac_f16_e32 v67, -0.5, v23
	v_sub_f16_e32 v46, v74, v65
	v_add_f16_e32 v23, v24, v65
	v_fmamk_f16 v24, v22, 0xbaee, v21
	v_fmac_f16_e32 v21, 0x3aee, v22
	v_add_f16_e32 v71, v45, v28
	v_add_f16_e32 v22, v75, v76
	v_lshrrev_b32_e32 v62, 16, v27
	v_add_f16_e32 v45, v77, v78
	v_fmamk_f16 v72, v46, 0x3aee, v67
	v_fmac_f16_e32 v67, 0xbaee, v46
	v_add_f16_e32 v46, v75, v27
	v_fma_f16 v28, -0.5, v22, v27
	v_sub_f16_e32 v65, v77, v78
	v_add_f16_e32 v68, v77, v62
	v_fmac_f16_e32 v62, -0.5, v45
	v_sub_f16_e32 v45, v75, v76
	v_add_f16_e32 v22, v46, v76
	v_pack_b32_f16 v46, v17, v47
	v_pack_b32_f16 v69, v18, v61
	v_fmamk_f16 v27, v65, 0xbaee, v28
	v_fmac_f16_e32 v28, 0x3aee, v65
	v_add_f16_e32 v65, v78, v68
	v_fmamk_f16 v68, v45, 0x3aee, v62
	v_fmac_f16_e32 v62, 0xbaee, v45
	v_pack_b32_f16 v45, v25, v64
	s_barrier
	buffer_gl0_inv
	ds_write2_b32 v51, v46, v69 offset1:2
	v_pack_b32_f16 v46, v26, v60
	v_pack_b32_f16 v69, v19, v63
	;; [unrolled: 1-line block ×6, first 2 shown]
	ds_write_b32 v51, v45 offset:16
	ds_write2_b32 v50, v46, v69 offset1:2
	ds_write_b32 v50, v70 offset:16
	ds_write2_b32 v49, v73, v74 offset1:2
	ds_write_b32 v49, v75 offset:16
	s_and_saveexec_b32 s1, vcc_lo
	s_cbranch_execz .LBB0_13
; %bb.12:
	v_mul_u32_u24_e32 v45, 6, v48
	v_perm_b32 v46, v68, v27, 0x5040100
	v_perm_b32 v48, v62, v28, 0x5040100
	v_or_b32_e32 v44, v45, v44
	v_perm_b32 v45, v65, v22, 0x5040100
	v_lshl_add_u32 v44, v44, 2, v41
	ds_write2_b32 v44, v45, v46 offset1:2
	ds_write_b32 v44, v48 offset:16
.LBB0_13:
	s_or_b32 exec_lo, exec_lo, s1
	s_waitcnt lgkmcnt(0)
	s_barrier
	buffer_gl0_inv
	s_and_saveexec_b32 s1, s0
	s_cbranch_execz .LBB0_15
; %bb.14:
	v_add_nc_u32_e32 v19, 0x200, v36
	v_add_nc_u32_e32 v21, 0x400, v36
	;; [unrolled: 1-line block ×4, first 2 shown]
	ds_read2_b32 v[17:18], v36 offset1:60
	ds_read2_b32 v[25:26], v36 offset0:120 offset1:180
	ds_read2_b32 v[19:20], v19 offset0:112 offset1:172
	;; [unrolled: 1-line block ×5, first 2 shown]
	ds_read_b32 v58, v36 offset:2880
	s_waitcnt lgkmcnt(6)
	v_lshrrev_b32_e32 v47, 16, v17
	v_lshrrev_b32_e32 v61, 16, v18
	s_waitcnt lgkmcnt(5)
	v_lshrrev_b32_e32 v64, 16, v25
	v_lshrrev_b32_e32 v60, 16, v26
	;; [unrolled: 3-line block ×6, first 2 shown]
	s_waitcnt lgkmcnt(0)
	v_lshrrev_b32_e32 v59, 16, v58
.LBB0_15:
	s_or_b32 exec_lo, exec_lo, s1
	v_add_nc_u32_e32 v46, 0x270, v52
	v_add_nc_u32_e32 v45, 0x3a8, v52
	;; [unrolled: 1-line block ×3, first 2 shown]
	s_barrier
	buffer_gl0_inv
	s_and_saveexec_b32 s1, s0
	s_cbranch_execz .LBB0_17
; %bb.16:
	v_mul_f16_sdwa v50, v4, v61 dst_sel:DWORD dst_unused:UNUSED_PAD src0_sel:WORD_1 src1_sel:DWORD
	v_mul_f16_sdwa v48, v11, v59 dst_sel:DWORD dst_unused:UNUSED_PAD src0_sel:WORD_1 src1_sel:DWORD
	;; [unrolled: 1-line block ×5, first 2 shown]
	v_fmac_f16_e32 v50, v4, v18
	v_fmac_f16_e32 v48, v11, v58
	v_mul_f16_sdwa v49, v10, v62 dst_sel:DWORD dst_unused:UNUSED_PAD src0_sel:WORD_1 src1_sel:DWORD
	v_fma_f16 v18, v11, v59, -v51
	v_fma_f16 v51, v4, v61, -v69
	v_mul_f16_sdwa v59, v10, v28 dst_sel:DWORD dst_unused:UNUSED_PAD src0_sel:WORD_1 src1_sel:DWORD
	v_sub_f16_e32 v11, v50, v48
	v_fmac_f16_e32 v52, v5, v25
	v_fmac_f16_e32 v49, v10, v28
	v_mul_f16_sdwa v25, v5, v25 dst_sel:DWORD dst_unused:UNUSED_PAD src0_sel:WORD_1 src1_sel:DWORD
	v_add_f16_e32 v69, v18, v51
	v_mul_f16_e32 v73, 0xbb7b, v11
	v_mul_f16_sdwa v58, v6, v60 dst_sel:DWORD dst_unused:UNUSED_PAD src0_sel:WORD_1 src1_sel:DWORD
	v_sub_f16_e32 v4, v52, v49
	v_fma_f16 v10, v10, v62, -v59
	v_fma_f16 v59, v5, v64, -v25
	v_mul_f16_sdwa v28, v9, v68 dst_sel:DWORD dst_unused:UNUSED_PAD src0_sel:WORD_1 src1_sel:DWORD
	v_fmamk_f16 v61, v69, 0xb5ac, v73
	v_fmac_f16_e32 v58, v6, v26
	v_mul_f16_sdwa v25, v9, v27 dst_sel:DWORD dst_unused:UNUSED_PAD src0_sel:WORD_1 src1_sel:DWORD
	v_mul_f16_sdwa v26, v6, v26 dst_sel:DWORD dst_unused:UNUSED_PAD src0_sel:WORD_1 src1_sel:DWORD
	v_mul_f16_e32 v74, 0x394e, v4
	v_add_f16_e32 v75, v10, v59
	v_fmac_f16_e32 v28, v9, v27
	v_fma_f16 v25, v9, v68, -v25
	v_fma_f16 v27, v6, v60, -v26
	v_add_f16_e32 v6, v47, v61
	v_fmamk_f16 v9, v75, 0xb9fd, v74
	v_mul_f16_sdwa v61, v7, v63 dst_sel:DWORD dst_unused:UNUSED_PAD src0_sel:WORD_1 src1_sel:DWORD
	v_mul_f16_sdwa v26, v8, v65 dst_sel:DWORD dst_unused:UNUSED_PAD src0_sel:WORD_1 src1_sel:DWORD
	v_sub_f16_e32 v5, v58, v28
	v_mul_f16_sdwa v64, v0, v66 dst_sel:DWORD dst_unused:UNUSED_PAD src0_sel:WORD_1 src1_sel:DWORD
	v_add_f16_e32 v68, v9, v6
	v_fmac_f16_e32 v61, v7, v19
	v_fmac_f16_e32 v26, v8, v22
	v_mul_f16_sdwa v6, v8, v22 dst_sel:DWORD dst_unused:UNUSED_PAD src0_sel:WORD_1 src1_sel:DWORD
	v_mul_f16_sdwa v19, v7, v19 dst_sel:DWORD dst_unused:UNUSED_PAD src0_sel:WORD_1 src1_sel:DWORD
	v_mul_f16_sdwa v62, v3, v67 dst_sel:DWORD dst_unused:UNUSED_PAD src0_sel:WORD_1 src1_sel:DWORD
	v_mul_f16_e32 v76, 0x3770, v5
	v_add_f16_e32 v77, v25, v27
	v_sub_f16_e32 v9, v61, v26
	v_fma_f16 v60, v8, v65, -v6
	v_fma_f16 v65, v7, v63, -v19
	v_fmac_f16_e32 v64, v0, v20
	v_fmac_f16_e32 v62, v3, v21
	v_mul_f16_sdwa v7, v3, v21 dst_sel:DWORD dst_unused:UNUSED_PAD src0_sel:WORD_1 src1_sel:DWORD
	v_mul_f16_sdwa v8, v0, v20 dst_sel:DWORD dst_unused:UNUSED_PAD src0_sel:WORD_1 src1_sel:DWORD
	v_fmamk_f16 v70, v77, 0x3b15, v76
	v_mul_f16_e32 v78, 0xbbf1, v9
	v_add_f16_e32 v79, v60, v65
	v_sub_f16_e32 v6, v64, v62
	v_fma_f16 v63, v3, v67, -v7
	v_fma_f16 v66, v0, v66, -v8
	v_add_f16_e32 v0, v70, v68
	v_fmamk_f16 v3, v79, 0x2fb7, v78
	v_mul_f16_e32 v80, 0x33a8, v6
	v_sub_f16_e32 v81, v51, v18
	v_add_f16_e32 v70, v63, v66
	v_mul_f16_sdwa v68, v1, v71 dst_sel:DWORD dst_unused:UNUSED_PAD src0_sel:WORD_1 src1_sel:DWORD
	v_add_f16_e32 v0, v3, v0
	v_mul_f16_sdwa v67, v2, v72 dst_sel:DWORD dst_unused:UNUSED_PAD src0_sel:WORD_1 src1_sel:DWORD
	v_mul_f16_e32 v82, 0xbb7b, v81
	v_fmamk_f16 v3, v70, 0xbbc4, v80
	v_sub_f16_e32 v83, v59, v10
	v_fmac_f16_e32 v68, v1, v23
	v_fmac_f16_e32 v67, v2, v24
	v_mul_f16_sdwa v8, v2, v24 dst_sel:DWORD dst_unused:UNUSED_PAD src0_sel:WORD_1 src1_sel:DWORD
	v_add_f16_e32 v19, v3, v0
	v_add_f16_e32 v3, v48, v50
	v_mul_f16_sdwa v20, v1, v23 dst_sel:DWORD dst_unused:UNUSED_PAD src0_sel:WORD_1 src1_sel:DWORD
	v_add_f16_e32 v7, v49, v52
	v_mul_f16_e32 v84, 0x394e, v83
	v_sub_f16_e32 v85, v27, v25
	v_fma_f16 v21, v3, 0xb5ac, -v82
	v_sub_f16_e32 v0, v68, v67
	v_fma_f16 v72, v2, v72, -v8
	v_fma_f16 v71, v1, v71, -v20
	;; [unrolled: 1-line block ×3, first 2 shown]
	v_add_f16_e32 v1, v17, v21
	v_add_f16_e32 v8, v28, v58
	v_mul_f16_e32 v86, 0x3770, v85
	v_sub_f16_e32 v88, v65, v60
	v_mul_f16_e32 v87, 0x3a95, v0
	v_add_f16_e32 v89, v72, v71
	v_add_f16_e32 v1, v2, v1
	v_fma_f16 v20, v8, 0x3b15, -v86
	v_add_f16_e32 v2, v26, v61
	v_mul_f16_e32 v90, 0xbbf1, v88
	v_fmamk_f16 v21, v89, 0x388b, v87
	v_sub_f16_e32 v91, v66, v63
	v_add_f16_e32 v20, v20, v1
	v_mul_f16_e32 v92, 0xb94e, v11
	v_fma_f16 v22, v2, 0x2fb7, -v90
	v_add_f16_e32 v1, v21, v19
	v_add_f16_e32 v19, v62, v64
	v_mul_f16_e32 v93, 0x33a8, v91
	v_sub_f16_e32 v94, v71, v72
	v_add_f16_e32 v21, v22, v20
	v_fmamk_f16 v22, v69, 0xb9fd, v92
	v_mul_f16_e32 v95, 0x3bf1, v4
	v_fma_f16 v23, v19, 0xbbc4, -v93
	v_add_f16_e32 v20, v67, v68
	v_mul_f16_e32 v96, 0x3a95, v94
	v_add_f16_e32 v22, v47, v22
	v_fmamk_f16 v24, v75, 0x2fb7, v95
	v_mul_f16_e32 v97, 0xba95, v5
	v_add_f16_e32 v21, v23, v21
	v_fma_f16 v23, v20, 0x388b, -v96
	v_mul_f16_e32 v98, 0xb94e, v81
	v_add_f16_e32 v22, v24, v22
	v_fmamk_f16 v24, v77, 0x388b, v97
	v_mul_f16_e32 v99, 0x33a8, v9
	v_add_f16_e32 v21, v23, v21
	v_fma_f16 v23, v3, 0xb9fd, -v98
	;; [unrolled: 6-line block ×3, first 2 shown]
	v_mul_f16_e32 v103, 0xba95, v85
	v_add_f16_e32 v22, v24, v22
	v_fmamk_f16 v24, v70, 0x3b15, v101
	v_mul_f16_e32 v104, 0xbb7b, v0
	v_fma_f16 v73, v69, 0xb5ac, -v73
	v_add_f16_e32 v23, v102, v23
	v_fma_f16 v102, v8, 0x388b, -v103
	v_mul_f16_e32 v105, 0x33a8, v88
	v_add_f16_e32 v22, v24, v22
	v_fmamk_f16 v24, v89, 0xb5ac, v104
	v_mul_f16_e32 v106, 0xb3a8, v11
	v_add_f16_e32 v73, v47, v73
	v_fma_f16 v74, v75, 0xb9fd, -v74
	v_add_f16_e32 v23, v102, v23
	v_fma_f16 v102, v2, 0xbbc4, -v105
	v_mul_f16_e32 v107, 0x3770, v91
	v_add_f16_e32 v22, v24, v22
	v_fmamk_f16 v24, v69, 0xbbc4, v106
	v_mul_f16_e32 v108, 0x3770, v4
	v_add_f16_e32 v73, v74, v73
	v_fma_f16 v74, v77, 0x3b15, -v76
	v_add_f16_e32 v23, v102, v23
	v_fma_f16 v102, v19, 0x3b15, -v107
	v_mul_f16_e32 v109, 0xbb7b, v94
	v_add_f16_e32 v24, v47, v24
	v_fmamk_f16 v110, v75, 0x3b15, v108
	v_mul_f16_e32 v111, 0xb94e, v5
	v_fma_f16 v92, v69, 0xb9fd, -v92
	v_fmac_f16_e32 v82, 0xb5ac, v3
	v_add_f16_e32 v73, v74, v73
	v_fma_f16 v74, v79, 0x2fb7, -v78
	v_add_f16_e32 v23, v102, v23
	v_fma_f16 v102, v20, 0xb5ac, -v109
	v_mul_f16_e32 v112, 0xb3a8, v81
	v_add_f16_e32 v24, v110, v24
	v_fmamk_f16 v110, v77, 0xb9fd, v111
	v_mul_f16_e32 v113, 0x3a95, v9
	v_add_f16_e32 v92, v47, v92
	v_fma_f16 v95, v75, 0x2fb7, -v95
	v_add_f16_e32 v78, v17, v82
	v_fmac_f16_e32 v84, 0xb9fd, v7
	v_add_f16_e32 v73, v74, v73
	v_fma_f16 v74, v70, 0xbbc4, -v80
	v_mul_f16_e32 v80, 0x2fb7, v69
	v_add_f16_e32 v23, v102, v23
	v_fma_f16 v102, v3, 0xbbc4, -v112
	v_mul_f16_e32 v114, 0x3770, v83
	v_add_f16_e32 v24, v110, v24
	v_fmamk_f16 v110, v79, 0x388b, v113
	v_mul_f16_e32 v115, 0xbb7b, v6
	v_fmac_f16_e32 v98, 0xb9fd, v3
	v_add_f16_e32 v92, v95, v92
	v_fma_f16 v95, v77, 0x388b, -v97
	v_add_f16_e32 v78, v84, v78
	v_fmac_f16_e32 v86, 0x3b15, v8
	v_add_f16_e32 v73, v74, v73
	v_fmamk_f16 v74, v11, 0x3bf1, v80
	v_mul_f16_e32 v82, 0xbbc4, v75
	v_add_f16_e32 v102, v17, v102
	v_fma_f16 v116, v7, 0x3b15, -v114
	v_mul_f16_e32 v117, 0xb94e, v85
	v_add_f16_e32 v24, v110, v24
	v_fmamk_f16 v110, v70, 0xb5ac, v115
	v_mul_f16_e32 v118, 0x3bf1, v0
	v_fma_f16 v106, v69, 0xbbc4, -v106
	v_add_f16_e32 v98, v17, v98
	v_fmac_f16_e32 v100, 0x2fb7, v7
	v_add_f16_e32 v92, v95, v92
	v_fma_f16 v95, v79, 0xbbc4, -v99
	v_add_f16_e32 v78, v86, v78
	v_fmac_f16_e32 v90, 0x2fb7, v2
	v_fma_f16 v84, v89, 0x388b, -v87
	v_add_f16_e32 v74, v47, v74
	v_fmamk_f16 v86, v4, 0x33a8, v82
	v_mul_f16_e32 v87, 0xb5ac, v77
	v_add_f16_e32 v102, v116, v102
	v_fma_f16 v116, v8, 0xb9fd, -v117
	v_mul_f16_e32 v119, 0x3a95, v88
	v_add_f16_e32 v24, v110, v24
	v_fmamk_f16 v110, v89, 0x2fb7, v118
	v_add_f16_e32 v106, v47, v106
	v_fma_f16 v108, v75, 0x3b15, -v108
	v_add_f16_e32 v98, v100, v98
	v_fmac_f16_e32 v103, 0x388b, v8
	v_add_f16_e32 v92, v95, v92
	v_fma_f16 v95, v70, 0x3b15, -v101
	v_add_f16_e32 v78, v90, v78
	v_fmac_f16_e32 v93, 0xbbc4, v19
	v_add_f16_e32 v73, v84, v73
	v_add_f16_e32 v74, v86, v74
	v_fmamk_f16 v84, v5, 0xbb7b, v87
	v_mul_f16_e32 v86, 0x3b15, v79
	v_add_f16_e32 v102, v116, v102
	v_fma_f16 v116, v2, 0x388b, -v119
	v_add_f16_e32 v24, v110, v24
	v_mul_f16_e32 v110, 0xbb7b, v91
	v_fmac_f16_e32 v112, 0xbbc4, v3
	v_add_f16_e32 v106, v108, v106
	v_fma_f16 v108, v77, 0xb9fd, -v111
	v_add_f16_e32 v98, v103, v98
	v_fmac_f16_e32 v105, 0xbbc4, v2
	v_add_f16_e32 v92, v95, v92
	v_fma_f16 v95, v89, 0xb5ac, -v104
	v_add_f16_e32 v78, v93, v78
	v_fmac_f16_e32 v96, 0x388b, v20
	v_mul_f16_e32 v90, 0xbbf1, v81
	v_add_f16_e32 v74, v84, v74
	v_fmamk_f16 v84, v9, 0xb770, v86
	v_mul_f16_e32 v93, 0x388b, v70
	v_add_f16_e32 v102, v116, v102
	v_fma_f16 v111, v19, 0xb5ac, -v110
	v_mul_f16_e32 v116, 0x3bf1, v94
	v_add_f16_e32 v112, v17, v112
	v_fmac_f16_e32 v114, 0x3b15, v7
	v_add_f16_e32 v106, v108, v106
	v_fma_f16 v108, v79, 0x388b, -v113
	v_add_f16_e32 v76, v105, v98
	v_add_f16_e32 v92, v95, v92
	;; [unrolled: 1-line block ×3, first 2 shown]
	v_fmamk_f16 v95, v3, 0x2fb7, v90
	v_mul_f16_e32 v96, 0xb3a8, v83
	v_add_f16_e32 v74, v84, v74
	v_fmamk_f16 v84, v6, 0x3a95, v93
	v_mul_f16_e32 v98, 0xb9fd, v89
	v_add_f16_e32 v102, v111, v102
	v_fma_f16 v111, v20, 0x2fb7, -v116
	v_add_f16_e32 v112, v114, v112
	v_fmac_f16_e32 v117, 0xb9fd, v8
	v_add_f16_e32 v106, v108, v106
	v_fma_f16 v108, v70, 0xb5ac, -v115
	v_add_f16_e32 v95, v17, v95
	v_fmamk_f16 v99, v7, 0xbbc4, v96
	v_mul_f16_e32 v100, 0x3b7b, v85
	v_add_f16_e32 v74, v84, v74
	v_fmamk_f16 v84, v0, 0x394e, v98
	v_mul_f16_e32 v101, 0x388b, v69
	v_add_f16_e32 v102, v111, v102
	v_add_f16_e32 v111, v117, v112
	v_fmac_f16_e32 v119, 0x388b, v2
	v_add_f16_e32 v106, v108, v106
	v_fma_f16 v108, v89, 0x2fb7, -v118
	v_fmac_f16_e32 v107, 0x3b15, v19
	v_add_f16_e32 v95, v99, v95
	v_fmamk_f16 v99, v8, 0xb5ac, v100
	v_mul_f16_e32 v103, 0x3770, v88
	v_add_f16_e32 v74, v84, v74
	v_fmamk_f16 v84, v11, 0x3a95, v101
	v_mul_f16_e32 v104, 0xb5ac, v75
	v_add_f16_e32 v111, v119, v111
	v_fmac_f16_e32 v110, 0xb5ac, v19
	v_add_f16_e32 v106, v108, v106
	v_add_f16_e32 v76, v107, v76
	v_fmac_f16_e32 v109, 0xb5ac, v20
	v_add_f16_e32 v95, v99, v95
	v_fmamk_f16 v99, v2, 0x3b15, v103
	v_mul_f16_e32 v105, 0xba95, v91
	v_add_f16_e32 v84, v47, v84
	v_fmamk_f16 v107, v4, 0x3b7b, v104
	v_mul_f16_e32 v108, 0xbbc4, v77
	v_add_f16_e32 v97, v110, v111
	v_add_f16_e32 v76, v109, v76
	;; [unrolled: 1-line block ×3, first 2 shown]
	v_fmamk_f16 v99, v19, 0x388b, v105
	v_mul_f16_e32 v109, 0xb94e, v94
	v_add_f16_e32 v84, v107, v84
	v_fmamk_f16 v107, v5, 0x33a8, v108
	v_mul_f16_e32 v110, 0xb9fd, v79
	v_add_f16_e32 v95, v99, v95
	;; [unrolled: 3-line block ×3, first 2 shown]
	v_fmamk_f16 v107, v9, 0xb94e, v110
	v_mul_f16_e32 v112, 0x2fb7, v70
	v_fmac_f16_e32 v116, 0x2fb7, v20
	v_add_f16_e32 v95, v99, v95
	v_fmamk_f16 v99, v3, 0x388b, v111
	v_mul_f16_e32 v113, 0xbb7b, v83
	v_add_f16_e32 v84, v107, v84
	v_fmamk_f16 v107, v6, 0xbbf1, v112
	v_mul_f16_e32 v114, 0x3b15, v89
	v_add_f16_e32 v97, v116, v97
	v_add_f16_e32 v99, v17, v99
	v_fmamk_f16 v115, v7, 0xb5ac, v113
	v_mul_f16_e32 v116, 0xb3a8, v85
	v_add_f16_e32 v84, v107, v84
	v_fmamk_f16 v107, v0, 0xb770, v114
	v_mul_f16_e32 v69, 0x3b15, v69
	v_add_f16_e32 v99, v115, v99
	v_fmamk_f16 v115, v8, 0xbbc4, v116
	v_mul_f16_e32 v117, 0x394e, v88
	v_add_f16_e32 v84, v107, v84
	v_fmamk_f16 v107, v11, 0x3770, v69
	v_mul_f16_e32 v75, 0x388b, v75
	v_add_f16_e32 v99, v115, v99
	v_fmamk_f16 v115, v2, 0xb9fd, v117
	v_mul_f16_e32 v118, 0x3bf1, v91
	v_add_f16_e32 v107, v47, v107
	v_fmamk_f16 v119, v4, 0x3a95, v75
	v_mul_f16_e32 v77, 0x2fb7, v77
	v_add_f16_e32 v50, v17, v50
	v_add_f16_e32 v99, v115, v99
	v_fmamk_f16 v115, v19, 0x2fb7, v118
	v_mul_f16_e32 v120, 0x3770, v94
	v_add_f16_e32 v107, v119, v107
	v_fmamk_f16 v119, v5, 0x3bf1, v77
	v_mul_f16_e32 v79, 0xb5ac, v79
	v_add_f16_e32 v50, v52, v50
	v_add_f16_e32 v51, v51, v47
	;; [unrolled: 1-line block ×3, first 2 shown]
	v_fmamk_f16 v115, v20, 0x3b15, v120
	v_add_f16_e32 v107, v119, v107
	v_fmamk_f16 v119, v9, 0x3b7b, v79
	v_mul_f16_e32 v81, 0xb770, v81
	v_add_f16_e32 v50, v58, v50
	v_add_f16_e32 v51, v59, v51
	;; [unrolled: 1-line block ×4, first 2 shown]
	v_fmamk_f16 v107, v3, 0x3b15, v81
	v_mul_f16_e32 v58, 0xba95, v83
	v_add_f16_e32 v50, v61, v50
	v_add_f16_e32 v27, v27, v51
	v_mul_f16_e32 v59, 0xb9fd, v70
	v_add_f16_e32 v70, v17, v107
	v_fmamk_f16 v51, v7, 0x388b, v58
	v_mul_f16_e32 v61, 0xbbf1, v85
	v_add_f16_e32 v50, v64, v50
	v_add_f16_e32 v27, v65, v27
	v_mul_f16_e32 v65, 0xbb7b, v88
	v_add_f16_e32 v51, v51, v70
	v_fmamk_f16 v64, v8, 0x2fb7, v61
	v_add_f16_e32 v50, v68, v50
	v_add_f16_e32 v27, v66, v27
	v_fmac_f16_e32 v80, 0xbbf1, v11
	v_fmac_f16_e32 v82, 0xb3a8, v4
	v_add_f16_e32 v51, v64, v51
	v_fmamk_f16 v64, v2, 0xb5ac, v65
	v_add_f16_e32 v50, v67, v50
	v_add_f16_e32 v27, v71, v27
	v_mul_f16_e32 v67, 0xb94e, v91
	v_fmac_f16_e32 v87, 0x3b7b, v5
	v_add_f16_e32 v51, v64, v51
	v_add_f16_e32 v50, v62, v50
	;; [unrolled: 1-line block ×3, first 2 shown]
	v_fmamk_f16 v62, v19, 0xb9fd, v67
	v_mul_f16_e32 v64, 0xb3a8, v94
	v_fmac_f16_e32 v101, 0xba95, v11
	v_add_f16_e32 v26, v26, v50
	v_add_f16_e32 v27, v63, v27
	;; [unrolled: 1-line block ×3, first 2 shown]
	v_fmamk_f16 v51, v20, 0xbbc4, v64
	v_fmac_f16_e32 v104, 0xbb7b, v4
	v_add_f16_e32 v26, v28, v26
	v_add_f16_e32 v27, v60, v27
	v_fmac_f16_e32 v108, 0xb3a8, v5
	v_add_f16_e32 v28, v51, v50
	v_fma_f16 v50, v3, 0x2fb7, -v90
	v_add_f16_e32 v26, v49, v26
	v_add_f16_e32 v25, v25, v27
	;; [unrolled: 1-line block ×3, first 2 shown]
	v_fmac_f16_e32 v110, 0x394e, v9
	v_add_f16_e32 v49, v17, v50
	v_fma_f16 v50, v7, 0xbbc4, -v96
	v_add_f16_e32 v26, v48, v26
	v_add_f16_e32 v10, v10, v25
	;; [unrolled: 1-line block ×3, first 2 shown]
	v_fma_f16 v48, v8, 0xb5ac, -v100
	v_add_f16_e32 v27, v50, v49
	v_fma_f16 v49, v3, 0x388b, -v111
	v_add_f16_e32 v10, v18, v10
	v_add_f16_e32 v18, v87, v25
	v_fma_f16 v50, v7, 0xb5ac, -v113
	v_add_f16_e32 v25, v48, v27
	v_fma_f16 v27, v2, 0x3b15, -v103
	v_add_f16_e32 v48, v47, v101
	v_add_f16_e32 v49, v17, v49
	v_fmac_f16_e32 v69, 0xb770, v11
	v_fma_f16 v3, v3, 0x3b15, -v81
	v_add_f16_e32 v25, v27, v25
	v_fma_f16 v27, v19, 0x388b, -v105
	v_add_f16_e32 v48, v104, v48
	v_fmac_f16_e32 v112, 0x3bf1, v6
	v_add_f16_e32 v47, v47, v69
	v_fmac_f16_e32 v75, 0xba95, v4
	v_add_f16_e32 v25, v27, v25
	v_add_f16_e32 v27, v108, v48
	v_fma_f16 v48, v20, 0xb9fd, -v109
	v_add_f16_e32 v3, v17, v3
	v_fma_f16 v7, v7, 0x388b, -v58
	v_fma_f16 v4, v2, 0xb9fd, -v117
	v_add_f16_e32 v27, v110, v27
	v_add_f16_e32 v25, v48, v25
	;; [unrolled: 1-line block ×3, first 2 shown]
	v_fma_f16 v49, v8, 0xbbc4, -v116
	v_add_f16_e32 v17, v75, v47
	v_add_f16_e32 v11, v112, v27
	v_fmac_f16_e32 v77, 0xbbf1, v5
	v_add_f16_e32 v3, v7, v3
	v_add_f16_e32 v27, v49, v48
	v_fma_f16 v5, v8, 0x2fb7, -v61
	v_fmamk_f16 v83, v6, 0x394e, v59
	v_mul_f16_e32 v68, 0xbbc4, v89
	v_fmac_f16_e32 v86, 0x3770, v9
	v_add_f16_e32 v4, v4, v27
	v_fma_f16 v7, v19, 0x2fb7, -v118
	v_fmac_f16_e32 v79, 0xbb7b, v9
	v_mov_b32_e32 v9, 0x4e
	v_add_f16_e32 v8, v77, v17
	v_add_f16_e32 v3, v5, v3
	v_fma_f16 v2, v2, 0xb5ac, -v65
	v_add_f16_e32 v66, v83, v99
	v_fmamk_f16 v70, v0, 0x33a8, v68
	v_add_f16_e32 v4, v7, v4
	v_mul_u32_u24_sdwa v7, v43, v9 dst_sel:DWORD dst_unused:UNUSED_PAD src0_sel:WORD_0 src1_sel:DWORD
	v_add_f16_e32 v18, v86, v18
	v_fmac_f16_e32 v93, 0xba95, v6
	v_add_f16_e32 v5, v79, v8
	v_fmac_f16_e32 v59, 0xb94e, v6
	v_add_f16_e32 v2, v2, v3
	v_fma_f16 v3, v19, 0xb9fd, -v67
	v_add_f16_e32 v62, v70, v66
	v_add_nc_u32_e32 v7, v7, v42
	v_add_f16_e32 v18, v93, v18
	v_fmac_f16_e32 v98, 0xb94e, v0
	v_fmac_f16_e32 v114, 0x3770, v0
	v_fma_f16 v6, v20, 0x3b15, -v120
	v_add_f16_e32 v5, v59, v5
	v_fmac_f16_e32 v68, 0xb3a8, v0
	v_add_f16_e32 v0, v3, v2
	v_fma_f16 v2, v20, 0xbbc4, -v64
	v_lshl_add_u32 v3, v7, 2, v41
	v_pack_b32_f16 v7, v26, v10
	v_pack_b32_f16 v8, v28, v62
	v_pack_b32_f16 v9, v52, v84
	v_pack_b32_f16 v10, v95, v74
	v_add_f16_e32 v18, v98, v18
	v_add_f16_e32 v11, v114, v11
	;; [unrolled: 1-line block ×5, first 2 shown]
	v_pack_b32_f16 v2, v78, v73
	v_pack_b32_f16 v6, v76, v92
	ds_write2_b32 v3, v7, v8 offset1:6
	ds_write2_b32 v3, v9, v10 offset0:12 offset1:18
	v_pack_b32_f16 v7, v97, v106
	v_pack_b32_f16 v8, v102, v24
	;; [unrolled: 1-line block ×7, first 2 shown]
	ds_write2_b32 v3, v2, v6 offset0:24 offset1:30
	ds_write2_b32 v3, v7, v8 offset0:36 offset1:42
	;; [unrolled: 1-line block ×4, first 2 shown]
	ds_write_b32 v3, v0 offset:288
.LBB0_17:
	s_or_b32 exec_lo, exec_lo, s1
	s_waitcnt lgkmcnt(0)
	s_barrier
	buffer_gl0_inv
	ds_read2_b32 v[4:5], v36 offset1:78
	ds_read2_b32 v[6:7], v36 offset0:156 offset1:234
	v_add_nc_u32_e32 v0, 0x400, v36
	v_add_nc_u32_e32 v3, 0x600, v36
	v_add_nc_u32_e32 v2, 0x800, v36
	ds_read2_b32 v[8:9], v0 offset0:56 offset1:134
	ds_read2_b32 v[10:11], v3 offset0:84 offset1:162
	ds_read2_b32 v[17:18], v2 offset0:112 offset1:190
	s_waitcnt lgkmcnt(0)
	s_barrier
	buffer_gl0_inv
	s_mov_b32 s4, 0x15015015
	s_mov_b32 s5, 0x3f550150
	s_mul_i32 s7, s8, 0xfffffb20
	v_lshrrev_b32_e32 v1, 16, v4
	v_lshrrev_b32_e32 v19, 16, v6
	;; [unrolled: 1-line block ×3, first 2 shown]
	v_mul_f16_sdwa v22, v12, v6 dst_sel:DWORD dst_unused:UNUSED_PAD src0_sel:WORD_1 src1_sel:DWORD
	v_lshrrev_b32_e32 v20, 16, v5
	v_lshrrev_b32_e32 v23, 16, v8
	;; [unrolled: 1-line block ×3, first 2 shown]
	v_mul_f16_sdwa v41, v12, v19 dst_sel:DWORD dst_unused:UNUSED_PAD src0_sel:WORD_1 src1_sel:DWORD
	v_lshrrev_b32_e32 v25, 16, v17
	v_lshrrev_b32_e32 v26, 16, v9
	v_fma_f16 v19, v12, v19, -v22
	v_mul_f16_sdwa v47, v14, v24 dst_sel:DWORD dst_unused:UNUSED_PAD src0_sel:WORD_1 src1_sel:DWORD
	v_fmac_f16_e32 v41, v12, v6
	v_mul_f16_sdwa v6, v13, v23 dst_sel:DWORD dst_unused:UNUSED_PAD src0_sel:WORD_1 src1_sel:DWORD
	v_mul_f16_sdwa v22, v13, v8 dst_sel:DWORD dst_unused:UNUSED_PAD src0_sel:WORD_1 src1_sel:DWORD
	;; [unrolled: 1-line block ×5, first 2 shown]
	v_fmac_f16_e32 v6, v13, v8
	v_fmac_f16_e32 v47, v14, v10
	v_mul_f16_sdwa v8, v12, v21 dst_sel:DWORD dst_unused:UNUSED_PAD src0_sel:WORD_1 src1_sel:DWORD
	v_mul_f16_sdwa v10, v12, v7 dst_sel:DWORD dst_unused:UNUSED_PAD src0_sel:WORD_1 src1_sel:DWORD
	v_lshrrev_b32_e32 v27, 16, v11
	v_lshrrev_b32_e32 v28, 16, v18
	v_fma_f16 v22, v13, v23, -v22
	v_fma_f16 v23, v14, v24, -v42
	v_fmac_f16_e32 v48, v15, v17
	v_mul_f16_sdwa v17, v13, v26 dst_sel:DWORD dst_unused:UNUSED_PAD src0_sel:WORD_1 src1_sel:DWORD
	v_mul_f16_sdwa v24, v13, v9 dst_sel:DWORD dst_unused:UNUSED_PAD src0_sel:WORD_1 src1_sel:DWORD
	v_fma_f16 v25, v15, v25, -v43
	v_fmac_f16_e32 v8, v12, v7
	v_fma_f16 v7, v12, v21, -v10
	v_add_f16_e32 v10, v6, v47
	v_fmac_f16_e32 v17, v13, v9
	v_fma_f16 v9, v13, v26, -v24
	v_mul_f16_sdwa v12, v14, v27 dst_sel:DWORD dst_unused:UNUSED_PAD src0_sel:WORD_1 src1_sel:DWORD
	v_mul_f16_sdwa v13, v14, v11 dst_sel:DWORD dst_unused:UNUSED_PAD src0_sel:WORD_1 src1_sel:DWORD
	v_mul_f16_sdwa v21, v15, v28 dst_sel:DWORD dst_unused:UNUSED_PAD src0_sel:WORD_1 src1_sel:DWORD
	v_add_f16_e32 v24, v4, v41
	v_fma_f16 v10, -0.5, v10, v4
	v_sub_f16_e32 v26, v19, v25
	v_fmac_f16_e32 v12, v14, v11
	v_fma_f16 v11, v14, v27, -v13
	v_fmac_f16_e32 v21, v15, v18
	v_add_f16_e32 v13, v24, v6
	v_fmamk_f16 v14, v26, 0xbb9c, v10
	v_sub_f16_e32 v24, v22, v23
	v_sub_f16_e32 v27, v41, v6
	;; [unrolled: 1-line block ×3, first 2 shown]
	v_add_f16_e32 v43, v41, v48
	v_mul_f16_sdwa v18, v15, v18 dst_sel:DWORD dst_unused:UNUSED_PAD src0_sel:WORD_1 src1_sel:DWORD
	v_fmac_f16_e32 v10, 0x3b9c, v26
	v_fmac_f16_e32 v14, 0xb8b4, v24
	v_add_f16_e32 v27, v27, v42
	v_fma_f16 v4, -0.5, v43, v4
	v_fma_f16 v15, v15, v28, -v18
	v_sub_f16_e32 v28, v6, v41
	v_sub_f16_e32 v42, v47, v48
	v_fmac_f16_e32 v10, 0x38b4, v24
	v_add_f16_e32 v43, v1, v19
	v_add_f16_e32 v49, v22, v23
	v_fmac_f16_e32 v14, 0x34f2, v27
	v_fmamk_f16 v18, v24, 0x3b9c, v4
	v_add_f16_e32 v28, v28, v42
	v_fmac_f16_e32 v4, 0xbb9c, v24
	v_add_f16_e32 v24, v43, v22
	v_fma_f16 v42, -0.5, v49, v1
	v_sub_f16_e32 v41, v41, v48
	v_fmac_f16_e32 v10, 0x34f2, v27
	v_add_f16_e32 v27, v19, v25
	v_add_f16_e32 v13, v13, v47
	v_fmac_f16_e32 v18, 0xb8b4, v26
	v_fmac_f16_e32 v4, 0x38b4, v26
	v_add_f16_e32 v24, v24, v23
	v_fmamk_f16 v26, v41, 0x3b9c, v42
	v_sub_f16_e32 v6, v6, v47
	v_sub_f16_e32 v43, v19, v22
	v_sub_f16_e32 v47, v25, v23
	v_fmac_f16_e32 v1, -0.5, v27
	v_fmac_f16_e32 v42, 0xbb9c, v41
	v_sub_f16_e32 v19, v22, v19
	v_sub_f16_e32 v22, v23, v25
	v_add_f16_e32 v23, v17, v12
	v_fmac_f16_e32 v18, 0x34f2, v28
	v_fmac_f16_e32 v4, 0x34f2, v28
	;; [unrolled: 1-line block ×3, first 2 shown]
	v_add_f16_e32 v27, v43, v47
	v_fmamk_f16 v28, v6, 0xbb9c, v1
	v_fmac_f16_e32 v42, 0xb8b4, v6
	v_add_f16_e32 v19, v19, v22
	v_fmac_f16_e32 v1, 0x3b9c, v6
	v_add_f16_e32 v6, v5, v8
	v_fma_f16 v22, -0.5, v23, v5
	v_sub_f16_e32 v23, v7, v15
	v_add_f16_e32 v24, v24, v25
	v_fmac_f16_e32 v26, 0x34f2, v27
	v_fmac_f16_e32 v28, 0x38b4, v41
	;; [unrolled: 1-line block ×4, first 2 shown]
	v_add_f16_e32 v6, v6, v17
	v_fmamk_f16 v25, v23, 0xbb9c, v22
	v_sub_f16_e32 v27, v9, v11
	v_sub_f16_e32 v41, v8, v17
	;; [unrolled: 1-line block ×3, first 2 shown]
	v_fmac_f16_e32 v22, 0x3b9c, v23
	v_add_f16_e32 v47, v8, v21
	v_add_f16_e32 v6, v6, v12
	v_fmac_f16_e32 v25, 0xb8b4, v27
	v_add_f16_e32 v41, v41, v43
	v_fmac_f16_e32 v22, 0x38b4, v27
	v_fmac_f16_e32 v5, -0.5, v47
	v_sub_f16_e32 v43, v17, v8
	v_sub_f16_e32 v47, v12, v21
	v_fmac_f16_e32 v28, 0x34f2, v19
	v_fmac_f16_e32 v1, 0x34f2, v19
	v_add_f16_e32 v6, v6, v21
	v_fmac_f16_e32 v25, 0x34f2, v41
	v_fmac_f16_e32 v22, 0x34f2, v41
	v_fmamk_f16 v19, v27, 0x3b9c, v5
	v_add_f16_e32 v41, v9, v11
	v_fmac_f16_e32 v5, 0xbb9c, v27
	v_add_f16_e32 v27, v20, v7
	v_sub_f16_e32 v8, v8, v21
	v_add_f16_e32 v21, v43, v47
	v_add_f16_e32 v43, v7, v15
	v_fma_f16 v41, -0.5, v41, v20
	v_fmac_f16_e32 v19, 0xb8b4, v23
	v_fmac_f16_e32 v5, 0x38b4, v23
	v_add_f16_e32 v23, v27, v9
	v_sub_f16_e32 v12, v17, v12
	v_fmac_f16_e32 v20, -0.5, v43
	v_fmamk_f16 v27, v8, 0x3b9c, v41
	v_fmac_f16_e32 v19, 0x34f2, v21
	v_fmac_f16_e32 v5, 0x34f2, v21
	v_add_f16_e32 v17, v23, v11
	v_sub_f16_e32 v21, v7, v9
	v_sub_f16_e32 v23, v15, v11
	v_fmamk_f16 v43, v12, 0xbb9c, v20
	v_sub_f16_e32 v7, v9, v7
	v_sub_f16_e32 v9, v11, v15
	v_fmac_f16_e32 v41, 0xbb9c, v8
	v_fmac_f16_e32 v20, 0x3b9c, v12
	;; [unrolled: 1-line block ×3, first 2 shown]
	v_add_f16_e32 v11, v21, v23
	v_fmac_f16_e32 v43, 0x38b4, v8
	v_add_f16_e32 v7, v7, v9
	v_fmac_f16_e32 v41, 0xb8b4, v12
	v_fmac_f16_e32 v20, 0xb8b4, v8
	v_add_f16_e32 v13, v13, v48
	v_add_f16_e32 v8, v17, v15
	v_fmac_f16_e32 v27, 0x34f2, v11
	v_fmac_f16_e32 v43, 0x34f2, v7
	;; [unrolled: 1-line block ×4, first 2 shown]
	v_pack_b32_f16 v7, v13, v24
	v_pack_b32_f16 v9, v14, v26
	;; [unrolled: 1-line block ×10, first 2 shown]
	ds_write2_b32 v36, v7, v9 offset1:78
	ds_write2_b32 v36, v11, v1 offset0:156 offset1:234
	ds_write2_b32 v0, v4, v6 offset0:56 offset1:134
	;; [unrolled: 1-line block ×4, first 2 shown]
	s_waitcnt lgkmcnt(0)
	s_barrier
	buffer_gl0_inv
	ds_read2_b32 v[4:5], v36 offset1:78
	ds_read2_b32 v[6:7], v0 offset0:56 offset1:134
	ds_read2_b32 v[8:9], v3 offset0:84 offset1:162
	;; [unrolled: 1-line block ×4, first 2 shown]
	s_waitcnt lgkmcnt(4)
	v_lshrrev_b32_e32 v1, 16, v4
	s_waitcnt lgkmcnt(3)
	v_lshrrev_b32_e32 v14, 16, v7
	;; [unrolled: 2-line block ×3, first 2 shown]
	v_mul_f16_sdwa v23, v57, v7 dst_sel:DWORD dst_unused:UNUSED_PAD src0_sel:WORD_1 src1_sel:DWORD
	s_waitcnt lgkmcnt(0)
	v_lshrrev_b32_e32 v21, 16, v12
	v_lshrrev_b32_e32 v19, 16, v9
	v_mul_f16_sdwa v22, v57, v14 dst_sel:DWORD dst_unused:UNUSED_PAD src0_sel:WORD_1 src1_sel:DWORD
	v_mul_f16_sdwa v25, v55, v17 dst_sel:DWORD dst_unused:UNUSED_PAD src0_sel:WORD_1 src1_sel:DWORD
	v_lshrrev_b32_e32 v26, 16, v13
	v_mul_f16_sdwa v27, v56, v21 dst_sel:DWORD dst_unused:UNUSED_PAD src0_sel:WORD_1 src1_sel:DWORD
	v_lshrrev_b32_e32 v15, 16, v5
	v_fmac_f16_e32 v22, v57, v7
	v_fma_f16 v7, v57, v14, -v23
	v_mul_f16_sdwa v14, v55, v8 dst_sel:DWORD dst_unused:UNUSED_PAD src0_sel:WORD_1 src1_sel:DWORD
	v_fmac_f16_e32 v25, v55, v8
	v_mul_f16_sdwa v8, v54, v19 dst_sel:DWORD dst_unused:UNUSED_PAD src0_sel:WORD_1 src1_sel:DWORD
	v_mul_f16_sdwa v23, v54, v9 dst_sel:DWORD dst_unused:UNUSED_PAD src0_sel:WORD_1 src1_sel:DWORD
	v_fmac_f16_e32 v27, v56, v12
	v_fma_f16 v14, v55, v17, -v14
	v_mul_f16_sdwa v17, v56, v12 dst_sel:DWORD dst_unused:UNUSED_PAD src0_sel:WORD_1 src1_sel:DWORD
	v_mul_f16_sdwa v12, v53, v26 dst_sel:DWORD dst_unused:UNUSED_PAD src0_sel:WORD_1 src1_sel:DWORD
	v_fmac_f16_e32 v8, v54, v9
	v_fma_f16 v9, v54, v19, -v23
	v_mul_f16_sdwa v19, v53, v13 dst_sel:DWORD dst_unused:UNUSED_PAD src0_sel:WORD_1 src1_sel:DWORD
	v_fma_f16 v17, v56, v21, -v17
	v_sub_f16_e32 v21, v4, v22
	v_sub_f16_e32 v7, v1, v7
	v_fmac_f16_e32 v12, v53, v13
	v_sub_f16_e32 v13, v5, v25
	v_sub_f16_e32 v14, v15, v14
	v_lshrrev_b32_e32 v18, 16, v10
	v_lshrrev_b32_e32 v20, 16, v11
	v_lshrrev_b32_e32 v24, 16, v6
	v_fma_f16 v19, v53, v26, -v19
	v_fma_f16 v4, v4, 2.0, -v21
	v_fma_f16 v1, v1, 2.0, -v7
	;; [unrolled: 1-line block ×4, first 2 shown]
	v_sub_f16_e32 v8, v10, v8
	v_sub_f16_e32 v9, v18, v9
	;; [unrolled: 1-line block ×6, first 2 shown]
	v_pack_b32_f16 v1, v4, v1
	v_pack_b32_f16 v4, v5, v15
	v_fma_f16 v10, v10, 2.0, -v8
	v_fma_f16 v18, v18, 2.0, -v9
	;; [unrolled: 1-line block ×4, first 2 shown]
	v_pack_b32_f16 v5, v13, v14
	v_fma_f16 v6, v6, 2.0, -v12
	v_fma_f16 v13, v24, 2.0, -v19
	ds_write2_b32 v36, v1, v4 offset1:78
	ds_write_b32 v36, v5 offset:1872
	v_pack_b32_f16 v4, v8, v9
	v_pack_b32_f16 v1, v10, v18
	;; [unrolled: 1-line block ×7, first 2 shown]
	ds_write_b32 v46, v4 offset:1560
	ds_write2_b32 v36, v1, v5 offset0:156 offset1:234
	ds_write_b32 v45, v8 offset:1560
	ds_write2_b32 v0, v6, v7 offset0:56 offset1:134
	ds_write_b32 v44, v9 offset:1560
	s_waitcnt lgkmcnt(0)
	s_barrier
	buffer_gl0_inv
	ds_read2_b32 v[4:5], v36 offset1:78
	s_waitcnt lgkmcnt(0)
	v_lshrrev_b32_e32 v1, 16, v4
	v_mul_f16_sdwa v6, v40, v1 dst_sel:DWORD dst_unused:UNUSED_PAD src0_sel:WORD_1 src1_sel:DWORD
	v_fmac_f16_e32 v6, v40, v4
	v_mul_f16_sdwa v4, v40, v4 dst_sel:DWORD dst_unused:UNUSED_PAD src0_sel:WORD_1 src1_sel:DWORD
	v_cvt_f32_f16_e32 v6, v6
	v_fma_f16 v1, v40, v1, -v4
	v_cvt_f64_f32_e32 v[6:7], v6
	v_cvt_f32_f16_e32 v1, v1
	v_cvt_f64_f32_e32 v[8:9], v1
	ds_read2_b32 v[0:1], v0 offset0:56 offset1:134
	v_mul_f64 v[6:7], v[6:7], s[4:5]
	s_waitcnt lgkmcnt(0)
	v_lshrrev_b32_e32 v17, 16, v1
	v_mul_f64 v[8:9], v[8:9], s[4:5]
	v_mul_f16_sdwa v15, v39, v17 dst_sel:DWORD dst_unused:UNUSED_PAD src0_sel:WORD_1 src1_sel:DWORD
	v_fmac_f16_e32 v15, v39, v1
	v_mul_f16_sdwa v1, v39, v1 dst_sel:DWORD dst_unused:UNUSED_PAD src0_sel:WORD_1 src1_sel:DWORD
	v_fma_f16 v1, v39, v17, -v1
	v_and_or_b32 v4, 0x1ff, v7, v6
	v_lshrrev_b32_e32 v6, 8, v7
	v_bfe_u32 v10, v7, 20, 11
	v_cvt_f32_f16_e32 v1, v1
	v_cmp_ne_u32_e32 vcc_lo, 0, v4
	v_and_or_b32 v8, 0x1ff, v9, v8
	v_lshrrev_b32_e32 v13, 8, v9
	v_bfe_u32 v14, v9, 20, 11
	v_add_nc_u32_e32 v18, 0xfffffc10, v10
	v_cndmask_b32_e64 v4, 0, 1, vcc_lo
	v_cmp_ne_u32_e32 vcc_lo, 0, v8
	v_lshrrev_b32_e32 v9, 16, v9
	v_and_or_b32 v6, 0xffe, v6, v4
	v_sub_nc_u32_e32 v4, 0x3f1, v10
	v_cndmask_b32_e64 v8, 0, 1, vcc_lo
	v_or_b32_e32 v11, 0x1000, v6
	v_med3_i32 v4, v4, 0, 13
	v_and_or_b32 v8, 0xffe, v13, v8
	v_sub_nc_u32_e32 v13, 0x3f1, v14
	v_lshrrev_b32_e32 v12, v4, v11
	v_or_b32_e32 v19, 0x1000, v8
	v_med3_i32 v20, v13, 0, 13
	v_cvt_f32_f16_e32 v13, v15
	v_lshl_or_b32 v15, v18, 12, v6
	v_lshlrev_b32_e32 v4, v4, v12
	v_lshrrev_b32_e32 v21, v20, v19
	v_cmp_ne_u32_e32 vcc_lo, v4, v11
	v_mad_u64_u32 v[10:11], null, s10, v16, 0
	v_cndmask_b32_e64 v4, 0, 1, vcc_lo
	v_cmp_gt_i32_e32 vcc_lo, 1, v18
	v_or_b32_e32 v4, v12, v4
	v_cvt_f64_f32_e32 v[12:13], v13
	v_cndmask_b32_e32 v22, v15, v4, vcc_lo
	v_lshlrev_b32_e32 v15, v20, v21
	v_mov_b32_e32 v4, v11
	v_add_nc_u32_e32 v20, 0xfffffc10, v14
	v_and_b32_e32 v11, 7, v22
	v_cmp_ne_u32_e32 vcc_lo, v15, v19
	v_mad_u64_u32 v[14:15], null, s11, v16, v[4:5]
	v_lshrrev_b32_e32 v16, 2, v22
	v_cmp_eq_u32_e64 s0, 3, v11
	v_cndmask_b32_e64 v19, 0, 1, vcc_lo
	v_cmp_lt_i32_e32 vcc_lo, 5, v11
	v_lshl_or_b32 v15, v20, 12, v8
	v_cmp_gt_i32_e64 s1, 1, v20
	v_or_b32_e32 v4, v21, v19
	s_or_b32 vcc_lo, s0, vcc_lo
	v_mul_f64 v[11:12], v[12:13], s[4:5]
	v_add_co_ci_u32_e32 v13, vcc_lo, 0, v16, vcc_lo
	v_cndmask_b32_e64 v4, v15, v4, s1
	v_cmp_ne_u32_e32 vcc_lo, 0, v6
	v_cmp_eq_u32_e64 s1, 0x40f, v18
	v_and_b32_e32 v15, 7, v4
	v_cndmask_b32_e64 v6, 0, 1, vcc_lo
	v_cmp_gt_i32_e32 vcc_lo, 31, v18
	v_cmp_eq_u32_e64 s0, 3, v15
	v_lshl_or_b32 v6, v6, 9, 0x7c00
	v_cndmask_b32_e32 v13, 0x7c00, v13, vcc_lo
	v_cmp_lt_i32_e32 vcc_lo, 5, v15
	v_cvt_f64_f32_e32 v[15:16], v1
	v_lshrrev_b32_e32 v1, 2, v4
	v_cndmask_b32_e64 v4, v13, v6, s1
	s_or_b32 vcc_lo, s0, vcc_lo
	v_lshrrev_b32_e32 v13, 16, v7
	v_add_co_ci_u32_e32 v1, vcc_lo, 0, v1, vcc_lo
	v_cmp_ne_u32_e32 vcc_lo, 0, v8
	v_and_or_b32 v8, 0x1ff, v12, v11
	v_lshrrev_b32_e32 v17, 8, v12
	v_bfe_u32 v19, v12, 20, 11
	v_and_or_b32 v4, 0x8000, v13, v4
	v_cndmask_b32_e64 v6, 0, 1, vcc_lo
	v_cmp_gt_i32_e32 vcc_lo, 31, v20
	v_lshrrev_b32_e32 v12, 16, v12
	v_and_b32_e32 v4, 0xffff, v4
	v_lshl_or_b32 v11, v6, 9, 0x7c00
	v_cndmask_b32_e32 v1, 0x7c00, v1, vcc_lo
	v_cmp_ne_u32_e32 vcc_lo, 0, v8
	v_mad_u64_u32 v[6:7], null, s8, v38, 0
	v_mul_f64 v[15:16], v[15:16], s[4:5]
	v_cndmask_b32_e64 v8, 0, 1, vcc_lo
	v_cmp_eq_u32_e32 vcc_lo, 0x40f, v20
	v_lshrrev_b32_e32 v20, 16, v5
	v_and_or_b32 v17, 0xffe, v17, v8
	v_cndmask_b32_e32 v18, v1, v11, vcc_lo
	v_mov_b32_e32 v1, v7
	v_sub_nc_u32_e32 v11, 0x3f1, v19
	v_mul_f16_sdwa v13, v37, v20 dst_sel:DWORD dst_unused:UNUSED_PAD src0_sel:WORD_1 src1_sel:DWORD
	v_and_or_b32 v9, 0x8000, v9, v18
	v_mad_u64_u32 v[7:8], null, s9, v38, v[1:2]
	v_or_b32_e32 v1, 0x1000, v17
	v_med3_i32 v8, v11, 0, 13
	v_mov_b32_e32 v11, v14
	v_fmac_f16_e32 v13, v37, v5
	v_lshl_or_b32 v4, v9, 16, v4
	v_mul_f16_sdwa v5, v37, v5 dst_sel:DWORD dst_unused:UNUSED_PAD src0_sel:WORD_1 src1_sel:DWORD
	v_lshrrev_b32_e32 v14, v8, v1
	v_lshlrev_b64 v[6:7], 2, v[6:7]
	v_fma_f16 v5, v37, v20, -v5
	v_lshlrev_b32_e32 v18, v8, v14
	v_lshlrev_b64 v[8:9], 2, v[10:11]
	v_and_or_b32 v10, 0x1ff, v16, v15
	v_cvt_f32_f16_e32 v11, v13
	v_add_nc_u32_e32 v13, 0xfffffc10, v19
	v_cmp_ne_u32_e32 vcc_lo, v18, v1
	v_lshrrev_b32_e32 v18, 8, v16
	v_bfe_u32 v19, v16, 20, 11
	v_cvt_f32_f16_e32 v5, v5
	v_cndmask_b32_e64 v1, 0, 1, vcc_lo
	v_cmp_ne_u32_e32 vcc_lo, 0, v10
	v_cvt_f64_f32_e32 v[10:11], v11
	v_or_b32_e32 v1, v14, v1
	v_cndmask_b32_e64 v15, 0, 1, vcc_lo
	v_add_co_u32 v8, vcc_lo, s2, v8
	v_add_co_ci_u32_e32 v9, vcc_lo, s3, v9, vcc_lo
	v_lshl_or_b32 v14, v13, 12, v17
	v_and_or_b32 v15, 0xffe, v18, v15
	v_sub_nc_u32_e32 v18, 0x3f1, v19
	v_cmp_gt_i32_e32 vcc_lo, 1, v13
	s_mul_hi_u32 s2, s8, 0x618
	s_mul_i32 s3, s8, 0x618
	v_med3_i32 v18, v18, 0, 13
	v_cndmask_b32_e32 v1, v14, v1, vcc_lo
	v_or_b32_e32 v14, 0x1000, v15
	v_add_co_u32 v6, vcc_lo, v8, v6
	v_add_co_ci_u32_e32 v7, vcc_lo, v9, v7, vcc_lo
	v_lshrrev_b32_e32 v21, v18, v14
	v_and_b32_e32 v22, 7, v1
	v_mul_f64 v[8:9], v[10:11], s[4:5]
	global_store_dword v[6:7], v4, off
	v_lshrrev_b32_e32 v1, 2, v1
	v_lshlrev_b32_e32 v4, v18, v21
	v_cmp_lt_i32_e32 vcc_lo, 5, v22
	v_cmp_eq_u32_e64 s0, 3, v22
	v_cmp_ne_u32_e64 s1, v4, v14
	v_add_nc_u32_e32 v14, 0xfffffc10, v19
	s_or_b32 vcc_lo, s0, vcc_lo
	v_add_co_ci_u32_e32 v1, vcc_lo, 0, v1, vcc_lo
	v_cndmask_b32_e64 v4, 0, 1, s1
	v_cmp_ne_u32_e32 vcc_lo, 0, v17
	v_lshl_or_b32 v11, v14, 12, v15
	v_or_b32_e32 v10, v21, v4
	v_cndmask_b32_e64 v17, 0, 1, vcc_lo
	v_cmp_gt_i32_e32 vcc_lo, 1, v14
	v_cvt_f64_f32_e32 v[4:5], v5
	v_and_or_b32 v8, 0x1ff, v9, v8
	v_bfe_u32 v20, v9, 20, 11
	v_lshrrev_b32_e32 v19, 8, v9
	v_cndmask_b32_e32 v18, v11, v10, vcc_lo
	v_cmp_gt_i32_e32 vcc_lo, 31, v13
	v_lshl_or_b32 v10, v17, 9, 0x7c00
	v_and_b32_e32 v17, 7, v18
	v_cndmask_b32_e32 v1, 0x7c00, v1, vcc_lo
	v_cmp_ne_u32_e32 vcc_lo, 0, v8
	v_cmp_eq_u32_e64 s0, 3, v17
	v_cndmask_b32_e64 v8, 0, 1, vcc_lo
	v_cmp_eq_u32_e32 vcc_lo, 0x40f, v13
	v_sub_nc_u32_e32 v13, 0x3f1, v20
	v_and_or_b32 v8, 0xffe, v19, v8
	v_cndmask_b32_e32 v1, v1, v10, vcc_lo
	ds_read2_b32 v[10:11], v3 offset0:84 offset1:162
	v_cmp_lt_i32_e32 vcc_lo, 5, v17
	v_mul_f64 v[3:4], v[4:5], s[4:5]
	v_lshrrev_b32_e32 v17, 2, v18
	v_med3_i32 v5, v13, 0, 13
	v_or_b32_e32 v18, 0x1000, v8
	s_or_b32 vcc_lo, s0, vcc_lo
	v_and_or_b32 v1, 0x8000, v12, v1
	v_add_co_ci_u32_e32 v13, vcc_lo, 0, v17, vcc_lo
	v_cmp_ne_u32_e32 vcc_lo, 0, v15
	v_lshrrev_b32_e32 v17, v5, v18
	v_and_b32_e32 v1, 0xffff, v1
	s_mul_i32 s0, s9, 0x618
	v_cndmask_b32_e64 v15, 0, 1, vcc_lo
	v_cmp_gt_i32_e32 vcc_lo, 31, v14
	v_lshlrev_b32_e32 v5, v5, v17
	s_add_i32 s2, s2, s0
	v_lshl_or_b32 v15, v15, 9, 0x7c00
	v_cndmask_b32_e32 v13, 0x7c00, v13, vcc_lo
	s_waitcnt lgkmcnt(0)
	v_lshrrev_b32_e32 v19, 16, v10
	v_cmp_eq_u32_e32 vcc_lo, 0x40f, v14
	v_and_or_b32 v3, 0x1ff, v4, v3
	v_mul_f16_sdwa v14, v35, v19 dst_sel:DWORD dst_unused:UNUSED_PAD src0_sel:WORD_1 src1_sel:DWORD
	v_cndmask_b32_e32 v12, v13, v15, vcc_lo
	v_cmp_ne_u32_e32 vcc_lo, v5, v18
	v_lshrrev_b32_e32 v13, 16, v16
	v_add_nc_u32_e32 v16, 0xfffffc10, v20
	v_fmac_f16_e32 v14, v35, v10
	v_mul_f16_sdwa v10, v35, v10 dst_sel:DWORD dst_unused:UNUSED_PAD src0_sel:WORD_1 src1_sel:DWORD
	v_cndmask_b32_e64 v5, 0, 1, vcc_lo
	v_cmp_ne_u32_e32 vcc_lo, 0, v3
	v_and_or_b32 v15, 0x8000, v13, v12
	v_cvt_f32_f16_e32 v13, v14
	v_lshrrev_b32_e32 v14, 8, v4
	v_or_b32_e32 v5, v17, v5
	v_cndmask_b32_e64 v3, 0, 1, vcc_lo
	v_bfe_u32 v17, v4, 20, 11
	v_lshl_or_b32 v12, v16, 12, v8
	v_cmp_gt_i32_e32 vcc_lo, 1, v16
	v_lshl_or_b32 v1, v15, 16, v1
	v_and_or_b32 v3, 0xffe, v14, v3
	v_sub_nc_u32_e32 v14, 0x3f1, v17
	v_fma_f16 v10, v35, v19, -v10
	v_cndmask_b32_e32 v5, v12, v5, vcc_lo
	v_cvt_f64_f32_e32 v[12:13], v13
	v_or_b32_e32 v20, 0x1000, v3
	v_med3_i32 v14, v14, 0, 13
	v_cvt_f32_f16_e32 v10, v10
	v_and_b32_e32 v18, 7, v5
	v_lshrrev_b32_e32 v5, 2, v5
	v_add_nc_u32_e32 v17, 0xfffffc10, v17
	v_lshrrev_b32_e32 v15, v14, v20
	v_lshrrev_b32_e32 v4, 16, v4
	v_cmp_lt_i32_e32 vcc_lo, 5, v18
	v_cmp_eq_u32_e64 s0, 3, v18
	v_lshl_or_b32 v19, v17, 12, v3
	v_lshlrev_b32_e32 v14, v14, v15
	s_or_b32 vcc_lo, s0, vcc_lo
	v_add_co_ci_u32_e32 v5, vcc_lo, 0, v5, vcc_lo
	v_cmp_ne_u32_e32 vcc_lo, v14, v20
	v_mul_f64 v[12:13], v[12:13], s[4:5]
	v_cndmask_b32_e64 v14, 0, 1, vcc_lo
	v_cmp_ne_u32_e32 vcc_lo, 0, v8
	v_or_b32_e32 v18, v15, v14
	v_cndmask_b32_e64 v8, 0, 1, vcc_lo
	v_cmp_gt_i32_e32 vcc_lo, 31, v16
	v_cvt_f64_f32_e32 v[14:15], v10
	v_lshl_or_b32 v20, v8, 9, 0x7c00
	v_cndmask_b32_e32 v10, 0x7c00, v5, vcc_lo
	v_cmp_gt_i32_e32 vcc_lo, 1, v17
	v_cndmask_b32_e32 v18, v19, v18, vcc_lo
	v_add_co_u32 v5, vcc_lo, v6, s3
	v_add_co_ci_u32_e32 v6, vcc_lo, s2, v7, vcc_lo
	v_cmp_eq_u32_e32 vcc_lo, 0x40f, v16
	ds_read2_b32 v[7:8], v36 offset0:156 offset1:234
	v_and_b32_e32 v19, 7, v18
	v_lshrrev_b32_e32 v18, 2, v18
	v_cndmask_b32_e32 v16, v10, v20, vcc_lo
	v_and_or_b32 v10, 0x1ff, v13, v12
	v_lshrrev_b32_e32 v12, 16, v9
	v_cmp_lt_i32_e32 vcc_lo, 5, v19
	v_cmp_eq_u32_e64 s0, 3, v19
	v_lshrrev_b32_e32 v20, 8, v13
	v_cmp_ne_u32_e64 s1, 0, v10
	v_mul_f64 v[9:10], v[14:15], s[4:5]
	v_bfe_u32 v14, v13, 20, 11
	s_or_b32 vcc_lo, s0, vcc_lo
	v_and_or_b32 v12, 0x8000, v12, v16
	v_add_co_ci_u32_e32 v15, vcc_lo, 0, v18, vcc_lo
	v_cndmask_b32_e64 v19, 0, 1, s1
	v_cmp_ne_u32_e32 vcc_lo, 0, v3
	v_and_b32_e32 v12, 0xffff, v12
	s_mul_hi_u32 s0, s8, 0xfffffb20
	s_mul_i32 s1, s9, 0xfffffb20
	v_and_or_b32 v18, 0xffe, v20, v19
	v_cndmask_b32_e64 v3, 0, 1, vcc_lo
	s_waitcnt lgkmcnt(0)
	v_lshrrev_b32_e32 v20, 16, v7
	v_cmp_gt_i32_e32 vcc_lo, 31, v17
	v_sub_nc_u32_e32 v19, 0x3f1, v14
	v_or_b32_e32 v21, 0x1000, v18
	v_lshl_or_b32 v3, v3, 9, 0x7c00
	v_mul_f16_sdwa v22, v34, v20 dst_sel:DWORD dst_unused:UNUSED_PAD src0_sel:WORD_1 src1_sel:DWORD
	v_cndmask_b32_e32 v15, 0x7c00, v15, vcc_lo
	v_cmp_eq_u32_e32 vcc_lo, 0x40f, v17
	v_med3_i32 v19, v19, 0, 13
	v_and_or_b32 v9, 0x1ff, v10, v9
	v_fmac_f16_e32 v22, v34, v7
	v_mul_f16_sdwa v7, v34, v7 dst_sel:DWORD dst_unused:UNUSED_PAD src0_sel:WORD_1 src1_sel:DWORD
	v_cndmask_b32_e32 v3, v15, v3, vcc_lo
	v_lshrrev_b32_e32 v15, v19, v21
	v_cmp_ne_u32_e32 vcc_lo, 0, v9
	s_sub_i32 s6, s0, s8
	v_fma_f16 v7, v34, v20, -v7
	v_and_or_b32 v16, 0x8000, v4, v3
	v_cvt_f32_f16_e32 v3, v22
	v_lshlrev_b32_e32 v17, v19, v15
	v_cndmask_b32_e64 v9, 0, 1, vcc_lo
	v_lshrrev_b32_e32 v19, 8, v10
	v_bfe_u32 v22, v10, 20, 11
	v_cvt_f64_f32_e32 v[3:4], v3
	v_cmp_ne_u32_e32 vcc_lo, v17, v21
	v_add_nc_u32_e32 v21, 0xfffffc10, v14
	v_and_or_b32 v9, 0xffe, v19, v9
	v_sub_nc_u32_e32 v14, 0x3f1, v22
	v_lshl_or_b32 v24, v16, 16, v12
	v_cndmask_b32_e64 v17, 0, 1, vcc_lo
	v_cmp_gt_i32_e32 vcc_lo, 1, v21
	v_or_b32_e32 v19, 0x1000, v9
	v_med3_i32 v14, v14, 0, 13
	s_add_i32 s6, s6, s1
	v_or_b32_e32 v15, v15, v17
	v_lshl_or_b32 v17, v21, 12, v18
	v_cvt_f32_f16_e32 v7, v7
	v_lshrrev_b32_e32 v23, v14, v19
	v_cndmask_b32_e32 v17, v17, v15, vcc_lo
	v_lshlrev_b32_e32 v16, v14, v23
	v_add_co_u32 v14, vcc_lo, v5, s7
	v_and_b32_e32 v12, 7, v17
	v_mul_f64 v[3:4], v[3:4], s[4:5]
	v_cmp_ne_u32_e64 s0, v16, v19
	v_add_co_ci_u32_e32 v15, vcc_lo, s6, v6, vcc_lo
	v_cmp_lt_i32_e32 vcc_lo, 5, v12
	v_add_nc_u32_e32 v19, 0xfffffc10, v22
	v_cndmask_b32_e64 v16, 0, 1, s0
	v_cmp_eq_u32_e64 s0, 3, v12
	v_lshrrev_b32_e32 v12, 2, v17
	global_store_dword v[5:6], v1, off
	global_store_dword v[14:15], v24, off
	v_lshl_or_b32 v22, v19, 12, v9
	v_or_b32_e32 v20, v23, v16
	s_or_b32 vcc_lo, s0, vcc_lo
	v_cvt_f64_f32_e32 v[16:17], v7
	v_add_co_ci_u32_e32 v7, vcc_lo, 0, v12, vcc_lo
	v_cmp_ne_u32_e32 vcc_lo, 0, v18
	v_cndmask_b32_e64 v12, 0, 1, vcc_lo
	v_cmp_gt_i32_e32 vcc_lo, 1, v19
	v_and_or_b32 v3, 0x1ff, v4, v3
	v_bfe_u32 v23, v4, 20, 11
	v_lshl_or_b32 v12, v12, 9, 0x7c00
	v_cndmask_b32_e32 v18, v22, v20, vcc_lo
	v_cmp_gt_i32_e32 vcc_lo, 31, v21
	v_lshrrev_b32_e32 v22, 8, v4
	v_and_b32_e32 v20, 7, v18
	v_cndmask_b32_e32 v7, 0x7c00, v7, vcc_lo
	v_cmp_ne_u32_e32 vcc_lo, 0, v3
	v_cmp_eq_u32_e64 s0, 3, v20
	v_cndmask_b32_e64 v3, 0, 1, vcc_lo
	v_cmp_eq_u32_e32 vcc_lo, 0x40f, v21
	v_lshrrev_b32_e32 v21, 16, v13
	v_and_or_b32 v3, 0xffe, v22, v3
	v_cndmask_b32_e32 v7, v7, v12, vcc_lo
	v_cmp_lt_i32_e32 vcc_lo, 5, v20
	v_mul_f64 v[12:13], v[16:17], s[4:5]
	v_lshrrev_b32_e32 v17, 2, v18
	v_sub_nc_u32_e32 v22, 0x3f1, v23
	v_or_b32_e32 v18, 0x1000, v3
	s_or_b32 vcc_lo, s0, vcc_lo
	v_lshrrev_b32_e32 v16, 16, v11
	v_add_co_ci_u32_e32 v17, vcc_lo, 0, v17, vcc_lo
	v_med3_i32 v20, v22, 0, 13
	v_cmp_ne_u32_e32 vcc_lo, 0, v9
	v_mul_f16_sdwa v22, v33, v16 dst_sel:DWORD dst_unused:UNUSED_PAD src0_sel:WORD_1 src1_sel:DWORD
	v_and_or_b32 v7, 0x8000, v21, v7
	v_lshrrev_b32_e32 v25, v20, v18
	v_cndmask_b32_e64 v9, 0, 1, vcc_lo
	v_cmp_gt_i32_e32 vcc_lo, 31, v19
	v_fmac_f16_e32 v22, v33, v11
	v_and_b32_e32 v7, 0xffff, v7
	v_lshlrev_b32_e32 v20, v20, v25
	v_lshl_or_b32 v9, v9, 9, 0x7c00
	v_cndmask_b32_e32 v17, 0x7c00, v17, vcc_lo
	v_cmp_eq_u32_e32 vcc_lo, 0x40f, v19
	v_and_or_b32 v12, 0x1ff, v13, v12
	v_cvt_f32_f16_e32 v21, v22
	v_lshrrev_b32_e32 v19, 16, v10
	v_bfe_u32 v22, v13, 20, 11
	v_cndmask_b32_e32 v17, v17, v9, vcc_lo
	v_cmp_ne_u32_e32 vcc_lo, v20, v18
	v_cvt_f64_f32_e32 v[9:10], v21
	v_add_nc_u32_e32 v20, 0xfffffc10, v23
	v_lshrrev_b32_e32 v21, 8, v13
	v_and_or_b32 v17, 0x8000, v19, v17
	v_cndmask_b32_e64 v18, 0, 1, vcc_lo
	v_cmp_ne_u32_e32 vcc_lo, 0, v12
	v_lshl_or_b32 v19, v20, 12, v3
	v_mul_f16_sdwa v11, v33, v11 dst_sel:DWORD dst_unused:UNUSED_PAD src0_sel:WORD_1 src1_sel:DWORD
	v_lshl_or_b32 v1, v17, 16, v7
	v_or_b32_e32 v18, v25, v18
	v_cndmask_b32_e64 v12, 0, 1, vcc_lo
	v_cmp_gt_i32_e32 vcc_lo, 1, v20
	v_fma_f16 v11, v33, v16, -v11
	v_lshrrev_b32_e32 v13, 16, v13
	v_and_or_b32 v21, 0xffe, v21, v12
	v_sub_nc_u32_e32 v12, 0x3f1, v22
	v_cndmask_b32_e32 v18, v19, v18, vcc_lo
	v_cvt_f32_f16_e32 v11, v11
	v_or_b32_e32 v19, 0x1000, v21
	v_med3_i32 v12, v12, 0, 13
	v_and_b32_e32 v7, 7, v18
	v_mul_f64 v[5:6], v[9:10], s[4:5]
	v_add_co_u32 v9, vcc_lo, v14, s3
	v_lshrrev_b32_e32 v17, v12, v19
	v_add_co_ci_u32_e32 v10, vcc_lo, s2, v15, vcc_lo
	v_cmp_lt_i32_e32 vcc_lo, 5, v7
	v_cmp_eq_u32_e64 s0, 3, v7
	v_lshlrev_b32_e32 v12, v12, v17
	v_lshrrev_b32_e32 v7, 2, v18
	v_add_nc_u32_e32 v14, 0xfffffc10, v22
	global_store_dword v[9:10], v1, off
	s_or_b32 vcc_lo, s0, vcc_lo
	v_cmp_ne_u32_e64 s1, v12, v19
	v_add_co_ci_u32_e32 v7, vcc_lo, 0, v7, vcc_lo
	v_cmp_ne_u32_e32 vcc_lo, 0, v3
	v_lshl_or_b32 v16, v14, 12, v21
	v_cndmask_b32_e64 v12, 0, 1, s1
	v_lshrrev_b32_e32 v19, 16, v4
	v_cndmask_b32_e64 v3, 0, 1, vcc_lo
	v_cmp_gt_i32_e32 vcc_lo, 1, v14
	v_or_b32_e32 v15, v17, v12
	v_cvt_f64_f32_e32 v[11:12], v11
	v_and_or_b32 v5, 0x1ff, v6, v5
	v_lshl_or_b32 v3, v3, 9, 0x7c00
	v_bfe_u32 v18, v6, 20, 11
	v_cndmask_b32_e32 v15, v16, v15, vcc_lo
	v_cmp_gt_i32_e32 vcc_lo, 31, v20
	v_lshrrev_b32_e32 v17, 8, v6
	v_and_b32_e32 v16, 7, v15
	v_cndmask_b32_e32 v7, 0x7c00, v7, vcc_lo
	v_cmp_ne_u32_e32 vcc_lo, 0, v5
	v_lshrrev_b32_e32 v15, 2, v15
	v_cmp_eq_u32_e64 s0, 3, v16
	v_cndmask_b32_e64 v5, 0, 1, vcc_lo
	v_cmp_eq_u32_e32 vcc_lo, 0x40f, v20
	v_lshrrev_b32_e32 v20, 16, v8
	v_and_or_b32 v5, 0xffe, v17, v5
	v_cndmask_b32_e32 v7, v7, v3, vcc_lo
	v_sub_nc_u32_e32 v3, 0x3f1, v18
	v_cmp_lt_i32_e32 vcc_lo, 5, v16
	v_or_b32_e32 v16, 0x1000, v5
	v_and_or_b32 v7, 0x8000, v19, v7
	v_med3_i32 v17, v3, 0, 13
	v_mul_f64 v[3:4], v[11:12], s[4:5]
	s_or_b32 vcc_lo, s0, vcc_lo
	v_add_co_ci_u32_e32 v11, vcc_lo, 0, v15, vcc_lo
	v_cmp_ne_u32_e32 vcc_lo, 0, v21
	v_lshrrev_b32_e32 v15, v17, v16
	v_mul_f16_sdwa v21, v32, v20 dst_sel:DWORD dst_unused:UNUSED_PAD src0_sel:WORD_1 src1_sel:DWORD
	v_and_b32_e32 v7, 0xffff, v7
	v_cndmask_b32_e64 v12, 0, 1, vcc_lo
	v_cmp_gt_i32_e32 vcc_lo, 31, v14
	v_lshlrev_b32_e32 v17, v17, v15
	v_fmac_f16_e32 v21, v32, v8
	v_mul_f16_sdwa v8, v32, v8 dst_sel:DWORD dst_unused:UNUSED_PAD src0_sel:WORD_1 src1_sel:DWORD
	v_lshl_or_b32 v12, v12, 9, 0x7c00
	v_cndmask_b32_e32 v11, 0x7c00, v11, vcc_lo
	v_cmp_eq_u32_e32 vcc_lo, 0x40f, v14
	v_fma_f16 v8, v32, v20, -v8
	v_cndmask_b32_e32 v14, v11, v12, vcc_lo
	v_cmp_ne_u32_e32 vcc_lo, v17, v16
	v_and_or_b32 v3, 0x1ff, v4, v3
	v_cvt_f32_f16_e32 v11, v21
	v_add_nc_u32_e32 v17, 0xfffffc10, v18
	v_and_or_b32 v13, 0x8000, v13, v14
	v_cndmask_b32_e64 v16, 0, 1, vcc_lo
	v_cmp_ne_u32_e32 vcc_lo, 0, v3
	v_cvt_f64_f32_e32 v[11:12], v11
	v_bfe_u32 v18, v4, 20, 11
	v_lshl_or_b32 v1, v13, 16, v7
	v_or_b32_e32 v14, v15, v16
	v_lshl_or_b32 v15, v17, 12, v5
	v_cndmask_b32_e64 v3, 0, 1, vcc_lo
	v_lshrrev_b32_e32 v16, 8, v4
	v_cmp_gt_i32_e32 vcc_lo, 1, v17
	v_lshrrev_b32_e32 v4, 16, v4
	v_and_or_b32 v3, 0xffe, v16, v3
	v_cndmask_b32_e32 v14, v15, v14, vcc_lo
	v_sub_nc_u32_e32 v15, 0x3f1, v18
	v_add_co_u32 v9, vcc_lo, v9, s7
	v_or_b32_e32 v13, 0x1000, v3
	v_and_b32_e32 v7, 7, v14
	v_med3_i32 v15, v15, 0, 13
	v_add_co_ci_u32_e32 v10, vcc_lo, s6, v10, vcc_lo
	v_cmp_lt_i32_e32 vcc_lo, 5, v7
	v_lshrrev_b32_e32 v16, v15, v13
	v_cmp_eq_u32_e64 s0, 3, v7
	v_mul_f64 v[11:12], v[11:12], s[4:5]
	global_store_dword v[9:10], v1, off
	v_lshrrev_b32_e32 v1, 2, v14
	v_lshlrev_b32_e32 v7, v15, v16
	s_or_b32 vcc_lo, s0, vcc_lo
	v_add_nc_u32_e32 v15, 0xfffffc10, v18
	v_add_co_ci_u32_e32 v14, vcc_lo, 0, v1, vcc_lo
	v_cmp_ne_u32_e32 vcc_lo, v7, v13
	v_cvt_f32_f16_e32 v7, v8
	ds_read2_b32 v[1:2], v2 offset0:112 offset1:190
	v_cndmask_b32_e64 v13, 0, 1, vcc_lo
	v_cmp_ne_u32_e32 vcc_lo, 0, v5
	v_cvt_f64_f32_e32 v[7:8], v7
	v_or_b32_e32 v13, v16, v13
	v_cndmask_b32_e64 v5, 0, 1, vcc_lo
	v_cmp_gt_i32_e32 vcc_lo, 31, v17
	v_lshl_or_b32 v16, v15, 12, v3
	v_and_or_b32 v11, 0x1ff, v12, v11
	v_bfe_u32 v18, v12, 20, 11
	v_lshl_or_b32 v5, v5, 9, 0x7c00
	v_cndmask_b32_e32 v14, 0x7c00, v14, vcc_lo
	v_cmp_gt_i32_e32 vcc_lo, 1, v15
	v_sub_nc_u32_e32 v19, 0x3f1, v18
	v_add_nc_u32_e32 v18, 0xfffffc10, v18
	s_waitcnt lgkmcnt(0)
	v_lshrrev_b32_e32 v20, 16, v1
	v_cndmask_b32_e32 v13, v16, v13, vcc_lo
	v_cmp_ne_u32_e32 vcc_lo, 0, v11
	v_lshrrev_b32_e32 v16, 8, v12
	v_lshrrev_b32_e32 v12, 16, v12
	v_cndmask_b32_e64 v11, 0, 1, vcc_lo
	v_cmp_eq_u32_e32 vcc_lo, 0x40f, v17
	v_and_b32_e32 v17, 7, v13
	v_lshrrev_b32_e32 v13, 2, v13
	v_and_or_b32 v11, 0xffe, v16, v11
	v_cndmask_b32_e32 v14, v14, v5, vcc_lo
	v_cmp_lt_i32_e32 vcc_lo, 5, v17
	v_cmp_eq_u32_e64 s0, 3, v17
	v_lshrrev_b32_e32 v16, 16, v6
	v_mul_f64 v[5:6], v[7:8], s[4:5]
	v_or_b32_e32 v21, 0x1000, v11
	v_med3_i32 v7, v19, 0, 13
	v_mul_f16_sdwa v8, v31, v20 dst_sel:DWORD dst_unused:UNUSED_PAD src0_sel:WORD_1 src1_sel:DWORD
	s_or_b32 vcc_lo, s0, vcc_lo
	v_and_or_b32 v14, 0x8000, v16, v14
	v_add_co_ci_u32_e32 v13, vcc_lo, 0, v13, vcc_lo
	v_lshrrev_b32_e32 v16, v7, v21
	v_cmp_ne_u32_e32 vcc_lo, 0, v3
	v_fmac_f16_e32 v8, v31, v1
	v_and_b32_e32 v14, 0xffff, v14
	v_mul_f16_sdwa v1, v31, v1 dst_sel:DWORD dst_unused:UNUSED_PAD src0_sel:WORD_1 src1_sel:DWORD
	v_lshlrev_b32_e32 v17, v7, v16
	v_cndmask_b32_e64 v3, 0, 1, vcc_lo
	v_cmp_gt_i32_e32 vcc_lo, 31, v15
	v_cvt_f32_f16_e32 v8, v8
	v_fma_f16 v1, v31, v20, -v1
	v_lshl_or_b32 v3, v3, 9, 0x7c00
	v_cndmask_b32_e32 v13, 0x7c00, v13, vcc_lo
	v_cmp_ne_u32_e32 vcc_lo, v17, v21
	v_cvt_f64_f32_e32 v[7:8], v8
	v_and_or_b32 v5, 0x1ff, v6, v5
	v_cvt_f32_f16_e32 v1, v1
	v_cndmask_b32_e64 v17, 0, 1, vcc_lo
	v_cmp_eq_u32_e32 vcc_lo, 0x40f, v15
	v_lshl_or_b32 v15, v18, 12, v11
	v_cndmask_b32_e32 v3, v13, v3, vcc_lo
	v_cmp_ne_u32_e32 vcc_lo, 0, v5
	v_or_b32_e32 v13, v16, v17
	v_lshrrev_b32_e32 v16, 8, v6
	v_bfe_u32 v17, v6, 20, 11
	v_cndmask_b32_e64 v5, 0, 1, vcc_lo
	v_cmp_gt_i32_e32 vcc_lo, 1, v18
	v_and_or_b32 v5, 0xffe, v16, v5
	v_sub_nc_u32_e32 v16, 0x3f1, v17
	v_cndmask_b32_e32 v13, v15, v13, vcc_lo
	v_and_or_b32 v15, 0x8000, v4, v3
	v_mul_f64 v[3:4], v[7:8], s[4:5]
	v_or_b32_e32 v21, 0x1000, v5
	v_med3_i32 v16, v16, 0, 13
	v_and_b32_e32 v19, 7, v13
	v_lshl_or_b32 v14, v15, 16, v14
	v_add_co_u32 v7, s1, v9, s3
	v_lshrrev_b32_e32 v15, v16, v21
	v_cmp_lt_i32_e32 vcc_lo, 5, v19
	v_cmp_eq_u32_e64 s0, 3, v19
	v_lshrrev_b32_e32 v9, 2, v13
	v_add_co_ci_u32_e64 v8, s1, s2, v10, s1
	v_lshlrev_b32_e32 v10, v16, v15
	s_or_b32 vcc_lo, s0, vcc_lo
	v_add_co_ci_u32_e32 v13, vcc_lo, 0, v9, vcc_lo
	v_cmp_ne_u32_e32 vcc_lo, v10, v21
	v_cvt_f64_f32_e32 v[9:10], v1
	v_add_nc_u32_e32 v1, 0xfffffc10, v17
	v_and_or_b32 v3, 0x1ff, v4, v3
	v_cndmask_b32_e64 v16, 0, 1, vcc_lo
	v_cmp_gt_i32_e32 vcc_lo, 31, v18
	v_lshrrev_b32_e32 v17, 8, v4
	v_bfe_u32 v19, v4, 20, 11
	v_or_b32_e32 v15, v15, v16
	v_cndmask_b32_e32 v13, 0x7c00, v13, vcc_lo
	v_cmp_ne_u32_e32 vcc_lo, 0, v3
	v_lshl_or_b32 v16, v1, 12, v5
	v_cndmask_b32_e64 v3, 0, 1, vcc_lo
	v_cmp_ne_u32_e32 vcc_lo, 0, v11
	v_and_or_b32 v3, 0xffe, v17, v3
	v_cndmask_b32_e64 v11, 0, 1, vcc_lo
	v_cmp_gt_i32_e32 vcc_lo, 1, v1
	v_lshrrev_b32_e32 v17, 16, v0
	v_mul_f64 v[9:10], v[9:10], s[4:5]
	v_or_b32_e32 v21, 0x1000, v3
	v_lshl_or_b32 v11, v11, 9, 0x7c00
	v_cndmask_b32_e32 v15, v16, v15, vcc_lo
	v_sub_nc_u32_e32 v16, 0x3f1, v19
	v_cmp_eq_u32_e32 vcc_lo, 0x40f, v18
	v_mul_f16_sdwa v22, v30, v17 dst_sel:DWORD dst_unused:UNUSED_PAD src0_sel:WORD_1 src1_sel:DWORD
	v_add_nc_u32_e32 v19, 0xfffffc10, v19
	v_and_b32_e32 v20, 7, v15
	v_med3_i32 v16, v16, 0, 13
	v_cndmask_b32_e32 v11, v13, v11, vcc_lo
	v_fmac_f16_e32 v22, v30, v0
	v_mul_f16_sdwa v0, v30, v0 dst_sel:DWORD dst_unused:UNUSED_PAD src0_sel:WORD_1 src1_sel:DWORD
	v_cmp_lt_i32_e32 vcc_lo, 5, v20
	v_lshrrev_b32_e32 v13, v16, v21
	v_cmp_eq_u32_e64 s0, 3, v20
	v_and_or_b32 v18, 0x8000, v12, v11
	v_lshrrev_b32_e32 v11, 2, v15
	v_cvt_f32_f16_e32 v15, v22
	v_lshlrev_b32_e32 v12, v16, v13
	s_or_b32 vcc_lo, s0, vcc_lo
	v_fma_f16 v0, v30, v17, -v0
	v_add_co_ci_u32_e32 v16, vcc_lo, 0, v11, vcc_lo
	v_cmp_ne_u32_e32 vcc_lo, v12, v21
	v_cvt_f64_f32_e32 v[11:12], v15
	v_lshl_or_b32 v15, v19, 12, v3
	v_and_or_b32 v9, 0x1ff, v10, v9
	v_cvt_f32_f16_e32 v0, v0
	v_cndmask_b32_e64 v20, 0, 1, vcc_lo
	v_cmp_ne_u32_e32 vcc_lo, 0, v5
	v_or_b32_e32 v13, v13, v20
	v_cndmask_b32_e64 v5, 0, 1, vcc_lo
	v_cmp_gt_i32_e32 vcc_lo, 31, v1
	v_bfe_u32 v20, v10, 20, 11
	v_lshl_or_b32 v5, v5, 9, 0x7c00
	v_cndmask_b32_e32 v16, 0x7c00, v16, vcc_lo
	v_cmp_gt_i32_e32 vcc_lo, 1, v19
	v_cndmask_b32_e32 v13, v15, v13, vcc_lo
	v_cmp_ne_u32_e32 vcc_lo, 0, v9
	v_lshrrev_b32_e32 v15, 8, v10
	v_and_b32_e32 v21, 7, v13
	v_cndmask_b32_e64 v9, 0, 1, vcc_lo
	v_cmp_eq_u32_e32 vcc_lo, 0x40f, v1
	v_lshrrev_b32_e32 v13, 2, v13
	v_cmp_eq_u32_e64 s0, 3, v21
	v_and_or_b32 v9, 0xffe, v15, v9
	v_sub_nc_u32_e32 v15, 0x3f1, v20
	v_cndmask_b32_e32 v1, v16, v5, vcc_lo
	v_cmp_lt_i32_e32 vcc_lo, 5, v21
	v_lshrrev_b32_e32 v16, 16, v6
	v_mul_f64 v[5:6], v[11:12], s[4:5]
	v_or_b32_e32 v11, 0x1000, v9
	v_med3_i32 v12, v15, 0, 13
	s_or_b32 vcc_lo, s0, vcc_lo
	v_and_or_b32 v1, 0x8000, v16, v1
	v_add_co_ci_u32_e32 v13, vcc_lo, 0, v13, vcc_lo
	v_and_b32_e32 v15, 0xffff, v18
	v_lshrrev_b32_e32 v16, v12, v11
	v_cmp_ne_u32_e32 vcc_lo, 0, v3
	v_lshrrev_b32_e32 v18, 16, v4
	v_lshl_or_b32 v15, v1, 16, v15
	v_lshlrev_b32_e32 v1, v12, v16
	v_cndmask_b32_e64 v3, 0, 1, vcc_lo
	v_cmp_gt_i32_e32 vcc_lo, 31, v19
	v_lshl_or_b32 v3, v3, 9, 0x7c00
	v_cndmask_b32_e32 v12, 0x7c00, v13, vcc_lo
	v_cmp_ne_u32_e32 vcc_lo, v1, v11
	v_and_or_b32 v5, 0x1ff, v6, v5
	v_add_nc_u32_e32 v13, 0xfffffc10, v20
	v_bfe_u32 v17, v6, 20, 11
	v_cndmask_b32_e64 v1, 0, 1, vcc_lo
	v_cmp_eq_u32_e32 vcc_lo, 0x40f, v19
	v_cndmask_b32_e32 v11, v12, v3, vcc_lo
	v_cmp_ne_u32_e32 vcc_lo, 0, v5
	v_or_b32_e32 v3, v16, v1
	v_lshl_or_b32 v12, v13, 12, v9
	v_lshrrev_b32_e32 v16, 8, v6
	v_cvt_f64_f32_e32 v[0:1], v0
	v_cndmask_b32_e64 v5, 0, 1, vcc_lo
	v_cmp_gt_i32_e32 vcc_lo, 1, v13
	v_and_or_b32 v18, 0x8000, v18, v11
	v_lshrrev_b32_e32 v6, 16, v6
	v_and_or_b32 v5, 0xffe, v16, v5
	v_cndmask_b32_e32 v12, v12, v3, vcc_lo
	v_sub_nc_u32_e32 v3, 0x3f1, v17
	v_lshrrev_b32_e32 v16, 16, v2
	v_add_nc_u32_e32 v17, 0xfffffc10, v17
	v_or_b32_e32 v20, 0x1000, v5
	v_and_b32_e32 v19, 7, v12
	v_med3_i32 v21, v3, 0, 13
	v_mul_f16_sdwa v22, v29, v16 dst_sel:DWORD dst_unused:UNUSED_PAD src0_sel:WORD_1 src1_sel:DWORD
	v_add_co_u32 v3, vcc_lo, v7, s7
	v_add_co_ci_u32_e32 v4, vcc_lo, s6, v8, vcc_lo
	v_lshrrev_b32_e32 v23, v21, v20
	v_fmac_f16_e32 v22, v29, v2
	v_cmp_lt_i32_e32 vcc_lo, 5, v19
	v_cmp_eq_u32_e64 s0, 3, v19
	v_lshrrev_b32_e32 v11, 2, v12
	v_lshlrev_b32_e32 v19, v21, v23
	v_cvt_f32_f16_e32 v12, v22
	v_mul_f64 v[0:1], v[0:1], s[4:5]
	s_or_b32 vcc_lo, s0, vcc_lo
	v_mul_f16_sdwa v2, v29, v2 dst_sel:DWORD dst_unused:UNUSED_PAD src0_sel:WORD_1 src1_sel:DWORD
	v_add_co_ci_u32_e32 v21, vcc_lo, 0, v11, vcc_lo
	v_cmp_ne_u32_e32 vcc_lo, v19, v20
	v_cvt_f64_f32_e32 v[11:12], v12
	v_lshl_or_b32 v20, v17, 12, v5
	v_fma_f16 v2, v29, v16, -v2
	v_cndmask_b32_e64 v19, 0, 1, vcc_lo
	v_cmp_ne_u32_e32 vcc_lo, 0, v9
	v_cvt_f32_f16_e32 v2, v2
	v_or_b32_e32 v19, v23, v19
	v_cndmask_b32_e64 v9, 0, 1, vcc_lo
	v_cmp_gt_i32_e32 vcc_lo, 31, v13
	v_lshl_or_b32 v9, v9, 9, 0x7c00
	v_cndmask_b32_e32 v16, 0x7c00, v21, vcc_lo
	v_cmp_gt_i32_e32 vcc_lo, 1, v17
	v_and_or_b32 v0, 0x1ff, v1, v0
	v_bfe_u32 v21, v1, 20, 11
	v_cndmask_b32_e32 v19, v20, v19, vcc_lo
	v_cmp_eq_u32_e32 vcc_lo, 0x40f, v13
	v_mul_f64 v[11:12], v[11:12], s[4:5]
	v_lshrrev_b32_e32 v20, 8, v1
	v_lshrrev_b32_e32 v1, 16, v1
	v_cndmask_b32_e32 v13, v16, v9, vcc_lo
	v_lshrrev_b32_e32 v16, 16, v10
	v_cvt_f64_f32_e32 v[9:10], v2
	v_cmp_ne_u32_e32 vcc_lo, 0, v0
	v_and_b32_e32 v2, 7, v19
	v_and_or_b32 v13, 0x8000, v16, v13
	v_and_b32_e32 v16, 0xffff, v18
	v_cndmask_b32_e64 v0, 0, 1, vcc_lo
	v_cmp_lt_i32_e32 vcc_lo, 5, v2
	v_cmp_eq_u32_e64 s0, 3, v2
	v_sub_nc_u32_e32 v18, 0x3f1, v21
	v_lshl_or_b32 v2, v13, 16, v16
	v_lshrrev_b32_e32 v13, 2, v19
	v_and_or_b32 v0, 0xffe, v20, v0
	s_or_b32 vcc_lo, s0, vcc_lo
	v_med3_i32 v18, v18, 0, 13
	v_add_co_ci_u32_e32 v13, vcc_lo, 0, v13, vcc_lo
	v_or_b32_e32 v16, 0x1000, v0
	v_cmp_ne_u32_e32 vcc_lo, 0, v5
	v_and_or_b32 v11, 0x1ff, v12, v11
	v_lshrrev_b32_e32 v20, 8, v12
	v_mul_f64 v[9:10], v[9:10], s[4:5]
	v_lshrrev_b32_e32 v19, v18, v16
	v_cndmask_b32_e64 v5, 0, 1, vcc_lo
	v_cmp_gt_i32_e32 vcc_lo, 31, v17
	v_bfe_u32 v22, v12, 20, 11
	v_lshrrev_b32_e32 v12, 16, v12
	v_lshlrev_b32_e32 v18, v18, v19
	v_lshl_or_b32 v5, v5, 9, 0x7c00
	v_cndmask_b32_e32 v13, 0x7c00, v13, vcc_lo
	v_cmp_ne_u32_e32 vcc_lo, 0, v11
	v_cndmask_b32_e64 v11, 0, 1, vcc_lo
	v_cmp_ne_u32_e32 vcc_lo, v18, v16
	v_add_nc_u32_e32 v18, 0xfffffc10, v21
	v_and_or_b32 v11, 0xffe, v20, v11
	v_cndmask_b32_e64 v16, 0, 1, vcc_lo
	v_sub_nc_u32_e32 v20, 0x3f1, v22
	v_cmp_eq_u32_e32 vcc_lo, 0x40f, v17
	v_and_or_b32 v9, 0x1ff, v10, v9
	v_or_b32_e32 v17, 0x1000, v11
	v_bfe_u32 v21, v10, 20, 11
	v_cndmask_b32_e32 v5, v13, v5, vcc_lo
	v_or_b32_e32 v13, v19, v16
	v_lshl_or_b32 v16, v18, 12, v0
	v_med3_i32 v19, v20, 0, 13
	v_cmp_gt_i32_e32 vcc_lo, 1, v18
	v_lshrrev_b32_e32 v20, 8, v10
	v_and_or_b32 v5, 0x8000, v6, v5
	v_cndmask_b32_e32 v13, v16, v13, vcc_lo
	v_lshrrev_b32_e32 v16, v19, v17
	v_cmp_ne_u32_e32 vcc_lo, 0, v9
	v_and_b32_e32 v5, 0xffff, v5
	v_and_b32_e32 v23, 7, v13
	v_lshlrev_b32_e32 v19, v19, v16
	v_cndmask_b32_e64 v9, 0, 1, vcc_lo
	v_lshrrev_b32_e32 v13, 2, v13
	v_cmp_lt_i32_e32 vcc_lo, 5, v23
	v_cmp_ne_u32_e64 s0, v19, v17
	v_and_or_b32 v6, 0xffe, v20, v9
	v_sub_nc_u32_e32 v9, 0x3f1, v21
	v_add_nc_u32_e32 v20, 0xfffffc10, v22
	v_cndmask_b32_e64 v17, 0, 1, s0
	v_cmp_eq_u32_e64 s0, 3, v23
	v_or_b32_e32 v19, 0x1000, v6
	v_med3_i32 v9, v9, 0, 13
	v_lshl_or_b32 v22, v20, 12, v11
	v_or_b32_e32 v16, v16, v17
	s_or_b32 vcc_lo, s0, vcc_lo
	v_add_co_ci_u32_e32 v13, vcc_lo, 0, v13, vcc_lo
	v_lshrrev_b32_e32 v17, v9, v19
	v_cmp_gt_i32_e32 vcc_lo, 1, v20
	v_lshlrev_b32_e32 v9, v9, v17
	v_cndmask_b32_e32 v16, v22, v16, vcc_lo
	v_cmp_ne_u32_e32 vcc_lo, 0, v0
	v_cndmask_b32_e64 v0, 0, 1, vcc_lo
	v_cmp_ne_u32_e32 vcc_lo, v9, v19
	v_add_nc_u32_e32 v19, 0xfffffc10, v21
	v_and_b32_e32 v21, 7, v16
	v_lshl_or_b32 v0, v0, 9, 0x7c00
	v_cndmask_b32_e64 v9, 0, 1, vcc_lo
	v_cmp_gt_i32_e32 vcc_lo, 31, v18
	v_cmp_gt_i32_e64 s1, 1, v19
	v_cmp_eq_u32_e64 s0, 3, v21
	v_or_b32_e32 v9, v17, v9
	v_lshl_or_b32 v17, v19, 12, v6
	v_cndmask_b32_e32 v13, 0x7c00, v13, vcc_lo
	v_cmp_lt_i32_e32 vcc_lo, 5, v21
	v_cndmask_b32_e64 v9, v17, v9, s1
	v_cmp_eq_u32_e64 s1, 0x40f, v18
	s_or_b32 vcc_lo, s0, vcc_lo
	v_cndmask_b32_e64 v0, v13, v0, s1
	v_lshrrev_b32_e32 v13, 2, v16
	v_and_b32_e32 v16, 7, v9
	v_lshrrev_b32_e32 v9, 2, v9
	v_cmp_gt_i32_e64 s1, 31, v20
	v_add_co_ci_u32_e32 v13, vcc_lo, 0, v13, vcc_lo
	v_cmp_ne_u32_e32 vcc_lo, 0, v11
	v_cmp_eq_u32_e64 s0, 3, v16
	v_cndmask_b32_e64 v13, 0x7c00, v13, s1
	v_cndmask_b32_e64 v11, 0, 1, vcc_lo
	v_cmp_lt_i32_e32 vcc_lo, 5, v16
	v_lshl_or_b32 v11, v11, 9, 0x7c00
	s_or_b32 vcc_lo, s0, vcc_lo
	v_add_co_ci_u32_e32 v9, vcc_lo, 0, v9, vcc_lo
	v_cmp_ne_u32_e32 vcc_lo, 0, v6
	v_cndmask_b32_e64 v6, 0, 1, vcc_lo
	v_cmp_eq_u32_e32 vcc_lo, 0x40f, v20
	v_lshl_or_b32 v6, v6, 9, 0x7c00
	v_cndmask_b32_e32 v11, v13, v11, vcc_lo
	v_cmp_gt_i32_e32 vcc_lo, 31, v19
	v_and_or_b32 v13, 0x8000, v1, v0
	v_and_or_b32 v11, 0x8000, v12, v11
	v_cndmask_b32_e32 v9, 0x7c00, v9, vcc_lo
	v_cmp_eq_u32_e32 vcc_lo, 0x40f, v19
	v_lshl_or_b32 v12, v13, 16, v5
	v_cndmask_b32_e32 v6, v9, v6, vcc_lo
	v_lshrrev_b32_e32 v9, 16, v10
	v_add_co_u32 v0, vcc_lo, v3, s3
	v_add_co_ci_u32_e32 v1, vcc_lo, s2, v4, vcc_lo
	v_and_or_b32 v9, 0x8000, v9, v6
	v_and_b32_e32 v10, 0xffff, v11
	v_add_co_u32 v5, vcc_lo, v0, s7
	v_add_co_ci_u32_e32 v6, vcc_lo, s6, v1, vcc_lo
	v_lshl_or_b32 v11, v9, 16, v10
	v_add_co_u32 v9, vcc_lo, v5, s3
	v_add_co_ci_u32_e32 v10, vcc_lo, s2, v6, vcc_lo
	global_store_dword v[7:8], v14, off
	global_store_dword v[3:4], v15, off
	;; [unrolled: 1-line block ×5, first 2 shown]
.LBB0_18:
	s_endpgm
	.section	.rodata,"a",@progbits
	.p2align	6, 0x0
	.amdhsa_kernel bluestein_single_fwd_len780_dim1_half_op_CI_CI
		.amdhsa_group_segment_fixed_size 9360
		.amdhsa_private_segment_fixed_size 0
		.amdhsa_kernarg_size 104
		.amdhsa_user_sgpr_count 6
		.amdhsa_user_sgpr_private_segment_buffer 1
		.amdhsa_user_sgpr_dispatch_ptr 0
		.amdhsa_user_sgpr_queue_ptr 0
		.amdhsa_user_sgpr_kernarg_segment_ptr 1
		.amdhsa_user_sgpr_dispatch_id 0
		.amdhsa_user_sgpr_flat_scratch_init 0
		.amdhsa_user_sgpr_private_segment_size 0
		.amdhsa_wavefront_size32 1
		.amdhsa_uses_dynamic_stack 0
		.amdhsa_system_sgpr_private_segment_wavefront_offset 0
		.amdhsa_system_sgpr_workgroup_id_x 1
		.amdhsa_system_sgpr_workgroup_id_y 0
		.amdhsa_system_sgpr_workgroup_id_z 0
		.amdhsa_system_sgpr_workgroup_info 0
		.amdhsa_system_vgpr_workitem_id 0
		.amdhsa_next_free_vgpr 178
		.amdhsa_next_free_sgpr 20
		.amdhsa_reserve_vcc 1
		.amdhsa_reserve_flat_scratch 0
		.amdhsa_float_round_mode_32 0
		.amdhsa_float_round_mode_16_64 0
		.amdhsa_float_denorm_mode_32 3
		.amdhsa_float_denorm_mode_16_64 3
		.amdhsa_dx10_clamp 1
		.amdhsa_ieee_mode 1
		.amdhsa_fp16_overflow 0
		.amdhsa_workgroup_processor_mode 1
		.amdhsa_memory_ordered 1
		.amdhsa_forward_progress 0
		.amdhsa_shared_vgpr_count 0
		.amdhsa_exception_fp_ieee_invalid_op 0
		.amdhsa_exception_fp_denorm_src 0
		.amdhsa_exception_fp_ieee_div_zero 0
		.amdhsa_exception_fp_ieee_overflow 0
		.amdhsa_exception_fp_ieee_underflow 0
		.amdhsa_exception_fp_ieee_inexact 0
		.amdhsa_exception_int_div_zero 0
	.end_amdhsa_kernel
	.text
.Lfunc_end0:
	.size	bluestein_single_fwd_len780_dim1_half_op_CI_CI, .Lfunc_end0-bluestein_single_fwd_len780_dim1_half_op_CI_CI
                                        ; -- End function
	.section	.AMDGPU.csdata,"",@progbits
; Kernel info:
; codeLenInByte = 20344
; NumSgprs: 22
; NumVgprs: 178
; ScratchSize: 0
; MemoryBound: 0
; FloatMode: 240
; IeeeMode: 1
; LDSByteSize: 9360 bytes/workgroup (compile time only)
; SGPRBlocks: 2
; VGPRBlocks: 22
; NumSGPRsForWavesPerEU: 22
; NumVGPRsForWavesPerEU: 178
; Occupancy: 5
; WaveLimiterHint : 1
; COMPUTE_PGM_RSRC2:SCRATCH_EN: 0
; COMPUTE_PGM_RSRC2:USER_SGPR: 6
; COMPUTE_PGM_RSRC2:TRAP_HANDLER: 0
; COMPUTE_PGM_RSRC2:TGID_X_EN: 1
; COMPUTE_PGM_RSRC2:TGID_Y_EN: 0
; COMPUTE_PGM_RSRC2:TGID_Z_EN: 0
; COMPUTE_PGM_RSRC2:TIDIG_COMP_CNT: 0
	.text
	.p2alignl 6, 3214868480
	.fill 48, 4, 3214868480
	.type	__hip_cuid_cd53048a38835809,@object ; @__hip_cuid_cd53048a38835809
	.section	.bss,"aw",@nobits
	.globl	__hip_cuid_cd53048a38835809
__hip_cuid_cd53048a38835809:
	.byte	0                               ; 0x0
	.size	__hip_cuid_cd53048a38835809, 1

	.ident	"AMD clang version 19.0.0git (https://github.com/RadeonOpenCompute/llvm-project roc-6.4.0 25133 c7fe45cf4b819c5991fe208aaa96edf142730f1d)"
	.section	".note.GNU-stack","",@progbits
	.addrsig
	.addrsig_sym __hip_cuid_cd53048a38835809
	.amdgpu_metadata
---
amdhsa.kernels:
  - .args:
      - .actual_access:  read_only
        .address_space:  global
        .offset:         0
        .size:           8
        .value_kind:     global_buffer
      - .actual_access:  read_only
        .address_space:  global
        .offset:         8
        .size:           8
        .value_kind:     global_buffer
      - .actual_access:  read_only
        .address_space:  global
        .offset:         16
        .size:           8
        .value_kind:     global_buffer
      - .actual_access:  read_only
        .address_space:  global
        .offset:         24
        .size:           8
        .value_kind:     global_buffer
      - .actual_access:  read_only
        .address_space:  global
        .offset:         32
        .size:           8
        .value_kind:     global_buffer
      - .offset:         40
        .size:           8
        .value_kind:     by_value
      - .address_space:  global
        .offset:         48
        .size:           8
        .value_kind:     global_buffer
      - .address_space:  global
        .offset:         56
        .size:           8
        .value_kind:     global_buffer
      - .address_space:  global
        .offset:         64
        .size:           8
        .value_kind:     global_buffer
      - .address_space:  global
        .offset:         72
        .size:           8
        .value_kind:     global_buffer
      - .offset:         80
        .size:           4
        .value_kind:     by_value
      - .address_space:  global
        .offset:         88
        .size:           8
        .value_kind:     global_buffer
      - .address_space:  global
        .offset:         96
        .size:           8
        .value_kind:     global_buffer
    .group_segment_fixed_size: 9360
    .kernarg_segment_align: 8
    .kernarg_segment_size: 104
    .language:       OpenCL C
    .language_version:
      - 2
      - 0
    .max_flat_workgroup_size: 234
    .name:           bluestein_single_fwd_len780_dim1_half_op_CI_CI
    .private_segment_fixed_size: 0
    .sgpr_count:     22
    .sgpr_spill_count: 0
    .symbol:         bluestein_single_fwd_len780_dim1_half_op_CI_CI.kd
    .uniform_work_group_size: 1
    .uses_dynamic_stack: false
    .vgpr_count:     178
    .vgpr_spill_count: 0
    .wavefront_size: 32
    .workgroup_processor_mode: 1
amdhsa.target:   amdgcn-amd-amdhsa--gfx1030
amdhsa.version:
  - 1
  - 2
...

	.end_amdgpu_metadata
